;; amdgpu-corpus repo=ROCm/rocFFT kind=compiled arch=gfx906 opt=O3
	.text
	.amdgcn_target "amdgcn-amd-amdhsa--gfx906"
	.amdhsa_code_object_version 6
	.protected	fft_rtc_back_len169_factors_13_13_wgs_156_tpt_13_sp_op_CI_CI_sbcc_twdbase8_3step_dirReg_intrinsicRead ; -- Begin function fft_rtc_back_len169_factors_13_13_wgs_156_tpt_13_sp_op_CI_CI_sbcc_twdbase8_3step_dirReg_intrinsicRead
	.globl	fft_rtc_back_len169_factors_13_13_wgs_156_tpt_13_sp_op_CI_CI_sbcc_twdbase8_3step_dirReg_intrinsicRead
	.p2align	8
	.type	fft_rtc_back_len169_factors_13_13_wgs_156_tpt_13_sp_op_CI_CI_sbcc_twdbase8_3step_dirReg_intrinsicRead,@function
fft_rtc_back_len169_factors_13_13_wgs_156_tpt_13_sp_op_CI_CI_sbcc_twdbase8_3step_dirReg_intrinsicRead: ; @fft_rtc_back_len169_factors_13_13_wgs_156_tpt_13_sp_op_CI_CI_sbcc_twdbase8_3step_dirReg_intrinsicRead
; %bb.0:
	s_load_dwordx4 s[0:3], s[4:5], 0x18
	s_load_dwordx2 s[24:25], s[4:5], 0x28
	s_mov_b32 s7, 0
	s_mov_b64 s[26:27], 0
	s_waitcnt lgkmcnt(0)
	s_load_dwordx2 s[30:31], s[0:1], 0x8
	s_waitcnt lgkmcnt(0)
	s_add_u32 s8, s30, -1
	s_addc_u32 s9, s31, -1
	s_add_u32 s10, 0, 0x55540000
	s_addc_u32 s11, 0, 0x55
	s_mul_hi_u32 s13, s10, -12
	s_add_i32 s11, s11, 0x15555500
	s_sub_i32 s13, s13, s10
	s_mul_i32 s16, s11, -12
	s_mul_i32 s12, s10, -12
	s_add_i32 s13, s13, s16
	s_mul_hi_u32 s14, s11, s12
	s_mul_i32 s15, s11, s12
	s_mul_i32 s17, s10, s13
	s_mul_hi_u32 s12, s10, s12
	s_mul_hi_u32 s16, s10, s13
	s_add_u32 s12, s12, s17
	s_addc_u32 s16, 0, s16
	s_add_u32 s12, s12, s15
	s_mul_hi_u32 s17, s11, s13
	s_addc_u32 s12, s16, s14
	s_addc_u32 s14, s17, 0
	s_mul_i32 s13, s11, s13
	s_add_u32 s12, s12, s13
	v_mov_b32_e32 v1, s12
	s_addc_u32 s13, 0, s14
	v_add_co_u32_e32 v1, vcc, s10, v1
	s_cmp_lg_u64 vcc, 0
	s_addc_u32 s10, s11, s13
	v_readfirstlane_b32 s13, v1
	s_mul_i32 s12, s8, s10
	s_mul_hi_u32 s14, s8, s13
	s_mul_hi_u32 s11, s8, s10
	s_add_u32 s12, s14, s12
	s_addc_u32 s11, 0, s11
	s_mul_hi_u32 s15, s9, s13
	s_mul_i32 s13, s9, s13
	s_add_u32 s12, s12, s13
	s_mul_hi_u32 s14, s9, s10
	s_addc_u32 s11, s11, s15
	s_addc_u32 s12, s14, 0
	s_mul_i32 s10, s9, s10
	s_add_u32 s10, s11, s10
	s_addc_u32 s11, 0, s12
	s_add_u32 s12, s10, 1
	s_addc_u32 s13, s11, 0
	s_add_u32 s14, s10, 2
	s_mul_i32 s16, s11, 12
	s_mul_hi_u32 s17, s10, 12
	s_addc_u32 s15, s11, 0
	s_add_i32 s17, s17, s16
	s_mul_i32 s16, s10, 12
	v_mov_b32_e32 v1, s16
	v_sub_co_u32_e32 v1, vcc, s8, v1
	s_cmp_lg_u64 vcc, 0
	s_subb_u32 s8, s9, s17
	v_subrev_co_u32_e32 v2, vcc, 12, v1
	s_cmp_lg_u64 vcc, 0
	s_subb_u32 s9, s8, 0
	v_readfirstlane_b32 s16, v2
	s_cmp_gt_u32 s16, 11
	s_cselect_b32 s16, -1, 0
	s_cmp_eq_u32 s9, 0
	s_cselect_b32 s9, s16, -1
	s_cmp_lg_u32 s9, 0
	s_cselect_b32 s9, s14, s12
	s_cselect_b32 s12, s15, s13
	v_readfirstlane_b32 s13, v1
	s_cmp_gt_u32 s13, 11
	s_cselect_b32 s13, -1, 0
	s_cmp_eq_u32 s8, 0
	s_cselect_b32 s8, s13, -1
	s_cmp_lg_u32 s8, 0
	s_cselect_b32 s9, s9, s10
	s_cselect_b32 s8, s12, s11
	s_add_u32 s34, s9, 1
	s_addc_u32 s35, s8, 0
	v_mov_b32_e32 v1, s34
	v_mov_b32_e32 v2, s35
	v_cmp_lt_u64_e32 vcc, s[6:7], v[1:2]
	s_cbranch_vccnz .LBB0_2
; %bb.1:
	v_cvt_f32_u32_e32 v1, s34
	s_sub_i32 s8, 0, s34
	s_mov_b32 s27, s7
	v_rcp_iflag_f32_e32 v1, v1
	v_mul_f32_e32 v1, 0x4f7ffffe, v1
	v_cvt_u32_f32_e32 v1, v1
	v_readfirstlane_b32 s9, v1
	s_mul_i32 s8, s8, s9
	s_mul_hi_u32 s8, s9, s8
	s_add_i32 s9, s9, s8
	s_mul_hi_u32 s8, s6, s9
	s_mul_i32 s10, s8, s34
	s_sub_i32 s10, s6, s10
	s_add_i32 s9, s8, 1
	s_sub_i32 s11, s10, s34
	s_cmp_ge_u32 s10, s34
	s_cselect_b32 s8, s9, s8
	s_cselect_b32 s10, s11, s10
	s_add_i32 s9, s8, 1
	s_cmp_ge_u32 s10, s34
	s_cselect_b32 s26, s9, s8
.LBB0_2:
	s_load_dwordx4 s[12:15], s[4:5], 0x60
	s_load_dwordx4 s[20:23], s[2:3], 0x0
	;; [unrolled: 1-line block ×3, first 2 shown]
	s_load_dwordx2 s[28:29], s[4:5], 0x0
	s_load_dwordx4 s[16:19], s[4:5], 0x8
	s_mul_i32 s4, s26, s35
	s_mul_hi_u32 s5, s26, s34
	s_add_i32 s5, s5, s4
	s_mul_i32 s4, s26, s34
	s_sub_u32 s33, s6, s4
	s_subb_u32 s4, 0, s5
	s_mul_i32 s4, s4, 12
	s_waitcnt lgkmcnt(0)
	s_mul_hi_u32 s21, s33, 12
	s_add_i32 s21, s21, s4
	s_mul_i32 s33, s33, 12
	s_mul_i32 s4, s22, s21
	s_mul_hi_u32 s5, s22, s33
	s_add_i32 s4, s5, s4
	s_mul_i32 s5, s23, s33
	s_add_i32 s50, s4, s5
	s_mul_i32 s4, s10, s21
	s_mul_hi_u32 s5, s10, s33
	v_cmp_lt_u64_e64 s[36:37], s[18:19], 3
	s_add_i32 s4, s5, s4
	s_mul_i32 s5, s11, s33
	s_mul_i32 s23, s22, s33
	s_add_i32 s5, s4, s5
	s_mul_i32 s4, s10, s33
	s_and_b64 vcc, exec, s[36:37]
	s_cbranch_vccnz .LBB0_12
; %bb.3:
	s_add_u32 s36, s24, 16
	s_addc_u32 s37, s25, 0
	s_add_u32 s38, s2, 16
	s_addc_u32 s39, s3, 0
	s_add_u32 s40, s0, 16
	v_mov_b32_e32 v1, s18
	s_addc_u32 s41, s1, 0
	s_mov_b64 s[42:43], 2
	s_mov_b32 s44, 0
	v_mov_b32_e32 v2, s19
.LBB0_4:                                ; =>This Inner Loop Header: Depth=1
	s_load_dwordx2 s[46:47], s[40:41], 0x0
	s_waitcnt lgkmcnt(0)
	s_or_b64 s[0:1], s[26:27], s[46:47]
	s_mov_b32 s45, s1
	s_cmp_lg_u64 s[44:45], 0
	s_cbranch_scc0 .LBB0_9
; %bb.5:                                ;   in Loop: Header=BB0_4 Depth=1
	v_cvt_f32_u32_e32 v3, s46
	v_cvt_f32_u32_e32 v4, s47
	s_sub_u32 s0, 0, s46
	s_subb_u32 s1, 0, s47
	v_mac_f32_e32 v3, 0x4f800000, v4
	v_rcp_f32_e32 v3, v3
	v_mul_f32_e32 v3, 0x5f7ffffc, v3
	v_mul_f32_e32 v4, 0x2f800000, v3
	v_trunc_f32_e32 v4, v4
	v_mac_f32_e32 v3, 0xcf800000, v4
	v_cvt_u32_f32_e32 v4, v4
	v_cvt_u32_f32_e32 v3, v3
	v_readfirstlane_b32 s45, v4
	v_readfirstlane_b32 s48, v3
	s_mul_i32 s49, s0, s45
	s_mul_hi_u32 s52, s0, s48
	s_mul_i32 s51, s1, s48
	s_add_i32 s49, s52, s49
	s_mul_i32 s53, s0, s48
	s_add_i32 s49, s49, s51
	s_mul_hi_u32 s51, s48, s49
	s_mul_i32 s52, s48, s49
	s_mul_hi_u32 s48, s48, s53
	s_add_u32 s48, s48, s52
	s_addc_u32 s51, 0, s51
	s_mul_hi_u32 s54, s45, s53
	s_mul_i32 s53, s45, s53
	s_add_u32 s48, s48, s53
	s_mul_hi_u32 s52, s45, s49
	s_addc_u32 s48, s51, s54
	s_addc_u32 s51, s52, 0
	s_mul_i32 s49, s45, s49
	s_add_u32 s48, s48, s49
	s_addc_u32 s49, 0, s51
	v_add_co_u32_e32 v3, vcc, s48, v3
	s_cmp_lg_u64 vcc, 0
	s_addc_u32 s45, s45, s49
	v_readfirstlane_b32 s49, v3
	s_mul_i32 s48, s0, s45
	s_mul_hi_u32 s51, s0, s49
	s_add_i32 s48, s51, s48
	s_mul_i32 s1, s1, s49
	s_add_i32 s48, s48, s1
	s_mul_i32 s0, s0, s49
	s_mul_hi_u32 s51, s45, s0
	s_mul_i32 s52, s45, s0
	s_mul_i32 s54, s49, s48
	s_mul_hi_u32 s0, s49, s0
	s_mul_hi_u32 s53, s49, s48
	s_add_u32 s0, s0, s54
	s_addc_u32 s49, 0, s53
	s_add_u32 s0, s0, s52
	s_mul_hi_u32 s1, s45, s48
	s_addc_u32 s0, s49, s51
	s_addc_u32 s1, s1, 0
	s_mul_i32 s48, s45, s48
	s_add_u32 s0, s0, s48
	s_addc_u32 s1, 0, s1
	v_add_co_u32_e32 v3, vcc, s0, v3
	s_cmp_lg_u64 vcc, 0
	s_addc_u32 s0, s45, s1
	v_readfirstlane_b32 s48, v3
	s_mul_i32 s45, s26, s0
	s_mul_hi_u32 s49, s26, s48
	s_mul_hi_u32 s1, s26, s0
	s_add_u32 s45, s49, s45
	s_addc_u32 s1, 0, s1
	s_mul_hi_u32 s51, s27, s48
	s_mul_i32 s48, s27, s48
	s_add_u32 s45, s45, s48
	s_mul_hi_u32 s49, s27, s0
	s_addc_u32 s1, s1, s51
	s_addc_u32 s45, s49, 0
	s_mul_i32 s0, s27, s0
	s_add_u32 s48, s1, s0
	s_addc_u32 s45, 0, s45
	s_mul_i32 s0, s46, s45
	s_mul_hi_u32 s1, s46, s48
	s_add_i32 s0, s1, s0
	s_mul_i32 s1, s47, s48
	s_add_i32 s49, s0, s1
	s_mul_i32 s1, s46, s48
	v_mov_b32_e32 v3, s1
	s_sub_i32 s0, s27, s49
	v_sub_co_u32_e32 v3, vcc, s26, v3
	s_cmp_lg_u64 vcc, 0
	s_subb_u32 s51, s0, s47
	v_subrev_co_u32_e64 v4, s[0:1], s46, v3
	s_cmp_lg_u64 s[0:1], 0
	s_subb_u32 s0, s51, 0
	s_cmp_ge_u32 s0, s47
	v_readfirstlane_b32 s51, v4
	s_cselect_b32 s1, -1, 0
	s_cmp_ge_u32 s51, s46
	s_cselect_b32 s51, -1, 0
	s_cmp_eq_u32 s0, s47
	s_cselect_b32 s0, s51, s1
	s_add_u32 s1, s48, 1
	s_addc_u32 s51, s45, 0
	s_add_u32 s52, s48, 2
	s_addc_u32 s53, s45, 0
	s_cmp_lg_u32 s0, 0
	s_cselect_b32 s0, s52, s1
	s_cselect_b32 s1, s53, s51
	s_cmp_lg_u64 vcc, 0
	s_subb_u32 s49, s27, s49
	s_cmp_ge_u32 s49, s47
	v_readfirstlane_b32 s52, v3
	s_cselect_b32 s51, -1, 0
	s_cmp_ge_u32 s52, s46
	s_cselect_b32 s52, -1, 0
	s_cmp_eq_u32 s49, s47
	s_cselect_b32 s49, s52, s51
	s_cmp_lg_u32 s49, 0
	s_cselect_b32 s1, s1, s45
	s_cselect_b32 s0, s0, s48
	s_cbranch_execnz .LBB0_7
.LBB0_6:                                ;   in Loop: Header=BB0_4 Depth=1
	v_cvt_f32_u32_e32 v3, s46
	s_sub_i32 s0, 0, s46
	v_rcp_iflag_f32_e32 v3, v3
	v_mul_f32_e32 v3, 0x4f7ffffe, v3
	v_cvt_u32_f32_e32 v3, v3
	v_readfirstlane_b32 s1, v3
	s_mul_i32 s0, s0, s1
	s_mul_hi_u32 s0, s1, s0
	s_add_i32 s1, s1, s0
	s_mul_hi_u32 s0, s26, s1
	s_mul_i32 s45, s0, s46
	s_sub_i32 s45, s26, s45
	s_add_i32 s1, s0, 1
	s_sub_i32 s48, s45, s46
	s_cmp_ge_u32 s45, s46
	s_cselect_b32 s0, s1, s0
	s_cselect_b32 s45, s48, s45
	s_add_i32 s1, s0, 1
	s_cmp_ge_u32 s45, s46
	s_cselect_b32 s0, s1, s0
	s_mov_b32 s1, s44
.LBB0_7:                                ;   in Loop: Header=BB0_4 Depth=1
	s_mul_i32 s35, s46, s35
	s_mul_hi_u32 s45, s46, s34
	s_add_i32 s35, s45, s35
	s_mul_i32 s45, s47, s34
	s_add_i32 s35, s35, s45
	s_mul_i32 s45, s0, s47
	s_mul_hi_u32 s47, s0, s46
	s_load_dwordx2 s[48:49], s[38:39], 0x0
	s_add_i32 s45, s47, s45
	s_mul_i32 s47, s1, s46
	s_mul_i32 s34, s46, s34
	s_add_i32 s45, s45, s47
	s_mul_i32 s46, s0, s46
	s_sub_u32 s46, s26, s46
	s_subb_u32 s45, s27, s45
	s_waitcnt lgkmcnt(0)
	s_mul_i32 s26, s48, s45
	s_mul_hi_u32 s27, s48, s46
	s_add_i32 s47, s27, s26
	s_load_dwordx2 s[26:27], s[36:37], 0x0
	s_mul_i32 s49, s49, s46
	s_add_i32 s47, s47, s49
	s_mul_i32 s48, s48, s46
	s_add_u32 s23, s48, s23
	s_addc_u32 s50, s47, s50
	s_waitcnt lgkmcnt(0)
	s_mul_i32 s45, s26, s45
	s_mul_hi_u32 s47, s26, s46
	s_add_i32 s45, s47, s45
	s_mul_i32 s27, s27, s46
	s_add_i32 s45, s45, s27
	s_mul_i32 s26, s26, s46
	s_add_u32 s4, s26, s4
	s_addc_u32 s5, s45, s5
	s_add_u32 s42, s42, 1
	s_addc_u32 s43, s43, 0
	;; [unrolled: 2-line block ×4, first 2 shown]
	v_cmp_ge_u64_e32 vcc, s[42:43], v[1:2]
	s_add_u32 s40, s40, 8
	s_addc_u32 s41, s41, 0
	s_cbranch_vccnz .LBB0_10
; %bb.8:                                ;   in Loop: Header=BB0_4 Depth=1
	s_mov_b64 s[26:27], s[0:1]
	s_branch .LBB0_4
.LBB0_9:                                ;   in Loop: Header=BB0_4 Depth=1
                                        ; implicit-def: $sgpr0_sgpr1
	s_branch .LBB0_6
.LBB0_10:
	v_mov_b32_e32 v1, s34
	v_mov_b32_e32 v2, s35
	v_cmp_lt_u64_e32 vcc, s[6:7], v[1:2]
	s_mov_b64 s[26:27], 0
	s_cbranch_vccnz .LBB0_12
; %bb.11:
	v_cvt_f32_u32_e32 v1, s34
	s_sub_i32 s0, 0, s34
	v_rcp_iflag_f32_e32 v1, v1
	v_mul_f32_e32 v1, 0x4f7ffffe, v1
	v_cvt_u32_f32_e32 v1, v1
	v_readfirstlane_b32 s1, v1
	s_mul_i32 s0, s0, s1
	s_mul_hi_u32 s0, s1, s0
	s_add_i32 s1, s1, s0
	s_mul_hi_u32 s0, s6, s1
	s_mul_i32 s7, s0, s34
	s_sub_i32 s6, s6, s7
	s_add_i32 s1, s0, 1
	s_sub_i32 s7, s6, s34
	s_cmp_ge_u32 s6, s34
	s_cselect_b32 s0, s1, s0
	s_cselect_b32 s6, s7, s6
	s_add_i32 s1, s0, 1
	s_cmp_ge_u32 s6, s34
	s_cselect_b32 s26, s1, s0
.LBB0_12:
	s_lshl_b64 s[6:7], s[18:19], 3
	s_add_u32 s0, s2, s6
	s_addc_u32 s1, s3, s7
	s_load_dword s0, s[0:1], 0x0
	v_mul_u32_u24_e32 v1, 0x1556, v0
	v_lshrrev_b32_e32 v16, 16, v1
	v_mul_lo_u16_e32 v1, 12, v16
	v_sub_u16_e32 v34, v0, v1
	s_waitcnt lgkmcnt(0)
	s_mul_i32 s0, s0, s26
	v_mul_lo_u32 v29, s22, v34
	v_mul_lo_u32 v3, s20, v16
	s_add_i32 s2, s0, s23
	v_mov_b32_e32 v1, s21
	v_add_co_u32_e32 v13, vcc, s33, v34
	v_addc_co_u32_e32 v14, vcc, 0, v1, vcc
	s_add_u32 s0, s33, 12
	v_mov_b32_e32 v1, s30
	s_addc_u32 s1, s21, 0
	v_mov_b32_e32 v2, s31
	v_cmp_le_u64_e32 vcc, s[0:1], v[1:2]
	v_add_lshl_u32 v1, v29, v3, 3
	v_add_u32_e32 v3, 26, v16
	v_add_u32_e32 v2, 13, v16
	v_mul_lo_u32 v3, s20, v3
	v_add_u32_e32 v4, 39, v16
	v_mul_lo_u32 v2, s20, v2
	v_mul_lo_u32 v4, s20, v4
	v_cmp_gt_u64_e64 s[0:1], s[30:31], v[13:14]
	v_add_lshl_u32 v3, v29, v3, 3
	s_or_b64 vcc, vcc, s[0:1]
	s_lshl_b32 s18, s2, 3
	v_cndmask_b32_e32 v1, -1, v1, vcc
	s_mov_b32 s3, 0x20000
	s_mov_b32 s2, -2
	s_mov_b32 s0, s12
	s_mov_b32 s1, s13
	v_add_lshl_u32 v2, v29, v2, 3
	v_cndmask_b32_e32 v3, -1, v3, vcc
	v_add_lshl_u32 v4, v29, v4, 3
	v_cndmask_b32_e32 v2, -1, v2, vcc
	v_cndmask_b32_e32 v4, -1, v4, vcc
	buffer_load_dwordx2 v[17:18], v1, s[0:3], s18 offen
	buffer_load_dwordx2 v[19:20], v2, s[0:3], s18 offen
	;; [unrolled: 1-line block ×4, first 2 shown]
	v_add_u32_e32 v3, 0x4e, v16
	v_mul_lo_u32 v3, s20, v3
	v_add_u32_e32 v4, 0x5b, v16
	v_add_u32_e32 v5, 52, v16
	v_mul_lo_u32 v4, s20, v4
	v_mul_lo_u32 v5, s20, v5
	v_add_u32_e32 v6, 0x41, v16
	v_mul_lo_u32 v6, s20, v6
	v_add_lshl_u32 v3, v29, v3, 3
	v_cndmask_b32_e32 v9, -1, v3, vcc
	v_add_lshl_u32 v3, v29, v4, 3
	v_add_lshl_u32 v1, v29, v5, 3
	v_cndmask_b32_e32 v10, -1, v3, vcc
	v_add_u32_e32 v3, 0x68, v16
	v_cndmask_b32_e32 v1, -1, v1, vcc
	v_add_lshl_u32 v2, v29, v6, 3
	v_mul_lo_u32 v14, s20, v3
	v_add_u32_e32 v3, 0x75, v16
	v_cndmask_b32_e32 v2, -1, v2, vcc
	v_mul_lo_u32 v15, s20, v3
	buffer_load_dwordx2 v[11:12], v1, s[0:3], s18 offen
	buffer_load_dwordx2 v[7:8], v2, s[0:3], s18 offen
	;; [unrolled: 1-line block ×4, first 2 shown]
	v_add_u32_e32 v9, 0x82, v16
	v_mul_lo_u32 v9, s20, v9
	v_add_u32_e32 v10, 0x8f, v16
	v_mul_lo_u32 v10, s20, v10
	v_add_lshl_u32 v1, v29, v14, 3
	v_cndmask_b32_e32 v1, -1, v1, vcc
	v_add_lshl_u32 v9, v29, v9, 3
	v_add_u32_e32 v14, 0x9c, v16
	v_cndmask_b32_e32 v30, -1, v9, vcc
	v_add_lshl_u32 v25, v29, v10, 3
	buffer_load_dwordx2 v[9:10], v1, s[0:3], s18 offen
	v_mul_lo_u32 v1, s20, v14
	v_add_lshl_u32 v2, v29, v15, 3
	v_cndmask_b32_e32 v2, -1, v2, vcc
	buffer_load_dwordx2 v[14:15], v2, s[0:3], s18 offen
	v_add_lshl_u32 v1, v29, v1, 3
	v_cndmask_b32_e32 v1, -1, v1, vcc
	v_cndmask_b32_e32 v2, -1, v25, vcc
	buffer_load_dwordx2 v[25:26], v30, s[0:3], s18 offen
	buffer_load_dwordx2 v[27:28], v2, s[0:3], s18 offen
	s_mov_b32 s12, 0xbf3f9e67
	buffer_load_dwordx2 v[29:30], v1, s[0:3], s18 offen
	s_mov_b32 s0, 0x3f62ad3f
	s_mov_b32 s1, 0x3f116cb1
	;; [unrolled: 1-line block ×5, first 2 shown]
	s_movk_i32 s18, 0x4e0
	s_waitcnt vmcnt(11)
	v_add_f32_e32 v1, v17, v19
	v_add_f32_e32 v2, v18, v20
	s_waitcnt vmcnt(10)
	v_add_f32_e32 v1, v1, v21
	v_add_f32_e32 v2, v2, v22
	s_waitcnt vmcnt(9)
	v_add_f32_e32 v1, v1, v23
	v_add_f32_e32 v2, v2, v24
	s_waitcnt vmcnt(8)
	v_add_f32_e32 v1, v1, v11
	v_add_f32_e32 v2, v2, v12
	s_waitcnt vmcnt(7)
	v_add_f32_e32 v1, v1, v7
	v_add_f32_e32 v2, v2, v8
	s_waitcnt vmcnt(6)
	v_add_f32_e32 v1, v1, v3
	v_add_f32_e32 v2, v2, v4
	s_waitcnt vmcnt(5)
	v_add_f32_e32 v1, v1, v5
	v_add_f32_e32 v2, v2, v6
	s_waitcnt vmcnt(4)
	v_add_f32_e32 v1, v1, v9
	v_add_f32_e32 v2, v2, v10
	s_waitcnt vmcnt(3)
	v_add_f32_e32 v1, v1, v14
	v_add_f32_e32 v2, v2, v15
	s_waitcnt vmcnt(2)
	v_add_f32_e32 v1, v1, v25
	v_add_f32_e32 v2, v2, v26
	s_waitcnt vmcnt(1)
	v_add_f32_e32 v1, v1, v27
	s_waitcnt vmcnt(0)
	v_add_f32_e32 v32, v30, v20
	v_sub_f32_e32 v20, v20, v30
	v_add_f32_e32 v2, v2, v28
	v_add_f32_e32 v1, v1, v29
	;; [unrolled: 1-line block ×3, first 2 shown]
	v_sub_f32_e32 v19, v19, v29
	v_mul_f32_e32 v29, 0xbeedf032, v20
	v_mul_f32_e32 v36, 0xbf52af12, v20
	;; [unrolled: 1-line block ×6, first 2 shown]
	v_add_f32_e32 v2, v2, v30
	v_mov_b32_e32 v30, v29
	v_mov_b32_e32 v37, v36
	;; [unrolled: 1-line block ×6, first 2 shown]
	v_fmac_f32_e32 v30, 0x3f62ad3f, v31
	v_mul_f32_e32 v33, 0x3f62ad3f, v32
	v_fma_f32 v29, v31, s0, -v29
	v_fmac_f32_e32 v37, 0x3f116cb1, v31
	v_mul_f32_e32 v38, 0x3f116cb1, v32
	v_fma_f32 v36, v31, s1, -v36
	v_fmac_f32_e32 v41, 0x3df6dbef, v31
	v_mul_f32_e32 v42, 0x3df6dbef, v32
	v_fma_f32 v40, v31, s2, -v40
	v_fmac_f32_e32 v45, 0xbeb58ec6, v31
	v_mul_f32_e32 v46, 0xbeb58ec6, v32
	v_fma_f32 v44, v31, s3, -v44
	v_fmac_f32_e32 v49, 0xbf3f9e67, v31
	v_mul_f32_e32 v50, 0xbf3f9e67, v32
	v_fma_f32 v48, v31, s12, -v48
	v_fmac_f32_e32 v52, 0xbf788fa5, v31
	v_mul_f32_e32 v32, 0xbf788fa5, v32
	v_fma_f32 v20, v31, s13, -v20
	v_add_f32_e32 v30, v17, v30
	v_mov_b32_e32 v35, v33
	v_add_f32_e32 v29, v17, v29
	v_add_f32_e32 v37, v17, v37
	v_mov_b32_e32 v39, v38
	v_add_f32_e32 v36, v17, v36
	;; [unrolled: 3-line block ×6, first 2 shown]
	v_add_f32_e32 v20, v28, v22
	v_sub_f32_e32 v22, v22, v28
	v_fmac_f32_e32 v35, 0x3eedf032, v19
	v_fmac_f32_e32 v33, 0xbeedf032, v19
	;; [unrolled: 1-line block ×12, first 2 shown]
	v_add_f32_e32 v19, v27, v21
	v_sub_f32_e32 v21, v21, v27
	v_mul_f32_e32 v27, 0xbf52af12, v22
	v_mov_b32_e32 v28, v27
	v_fmac_f32_e32 v28, 0x3f116cb1, v19
	v_add_f32_e32 v28, v28, v30
	v_mul_f32_e32 v30, 0x3f116cb1, v20
	v_add_f32_e32 v33, v18, v33
	v_mov_b32_e32 v31, v30
	v_fma_f32 v27, v19, s1, -v27
	v_fmac_f32_e32 v30, 0xbf52af12, v21
	v_add_f32_e32 v27, v27, v29
	v_add_f32_e32 v29, v30, v33
	v_mul_f32_e32 v30, 0xbf6f5d39, v22
	v_add_f32_e32 v35, v18, v35
	v_add_f32_e32 v39, v18, v39
	;; [unrolled: 1-line block ×11, first 2 shown]
	v_mov_b32_e32 v32, v30
	v_fma_f32 v30, v19, s3, -v30
	v_fmac_f32_e32 v31, 0x3f52af12, v21
	v_fmac_f32_e32 v32, 0xbeb58ec6, v19
	v_mul_f32_e32 v33, 0xbeb58ec6, v20
	v_add_f32_e32 v30, v30, v36
	v_mul_f32_e32 v36, 0xbe750f2a, v22
	v_add_f32_e32 v31, v31, v35
	v_add_f32_e32 v32, v32, v37
	v_mov_b32_e32 v35, v33
	v_fmac_f32_e32 v33, 0xbf6f5d39, v21
	v_mov_b32_e32 v37, v36
	v_fma_f32 v36, v19, s13, -v36
	v_fmac_f32_e32 v35, 0x3f6f5d39, v21
	v_add_f32_e32 v33, v33, v38
	v_fmac_f32_e32 v37, 0xbf788fa5, v19
	v_mul_f32_e32 v38, 0xbf788fa5, v20
	v_add_f32_e32 v36, v36, v40
	v_mul_f32_e32 v40, 0x3f29c268, v22
	v_add_f32_e32 v35, v35, v39
	v_add_f32_e32 v37, v37, v41
	v_mov_b32_e32 v39, v38
	v_fmac_f32_e32 v38, 0xbe750f2a, v21
	v_mov_b32_e32 v41, v40
	v_fma_f32 v40, v19, s12, -v40
	v_fmac_f32_e32 v39, 0x3e750f2a, v21
	v_add_f32_e32 v38, v38, v42
	v_fmac_f32_e32 v41, 0xbf3f9e67, v19
	v_mul_f32_e32 v42, 0xbf3f9e67, v20
	v_add_f32_e32 v40, v40, v44
	v_mul_f32_e32 v44, 0x3f7e222b, v22
	v_add_f32_e32 v39, v39, v43
	v_add_f32_e32 v41, v41, v45
	v_mov_b32_e32 v43, v42
	v_fmac_f32_e32 v42, 0x3f29c268, v21
	v_mov_b32_e32 v45, v44
	v_fma_f32 v44, v19, s2, -v44
	v_mul_f32_e32 v22, 0x3eedf032, v22
	v_fmac_f32_e32 v43, 0xbf29c268, v21
	v_add_f32_e32 v42, v42, v46
	v_fmac_f32_e32 v45, 0x3df6dbef, v19
	v_mul_f32_e32 v46, 0x3df6dbef, v20
	v_add_f32_e32 v44, v44, v48
	v_mov_b32_e32 v48, v22
	v_mul_f32_e32 v20, 0x3f62ad3f, v20
	v_add_f32_e32 v43, v43, v47
	v_add_f32_e32 v45, v45, v49
	v_mov_b32_e32 v47, v46
	v_fmac_f32_e32 v48, 0x3f62ad3f, v19
	v_mov_b32_e32 v49, v20
	v_fma_f32 v19, v19, s0, -v22
	v_sub_f32_e32 v22, v24, v26
	v_fmac_f32_e32 v47, 0xbf7e222b, v21
	v_fmac_f32_e32 v46, 0x3f7e222b, v21
	;; [unrolled: 1-line block ×3, first 2 shown]
	v_add_f32_e32 v17, v19, v17
	v_fmac_f32_e32 v20, 0x3eedf032, v21
	v_add_f32_e32 v19, v25, v23
	v_sub_f32_e32 v21, v23, v25
	v_mul_f32_e32 v23, 0xbf7e222b, v22
	v_add_f32_e32 v18, v20, v18
	v_add_f32_e32 v20, v26, v24
	v_mov_b32_e32 v24, v23
	v_fma_f32 v23, v19, s2, -v23
	v_fmac_f32_e32 v24, 0x3df6dbef, v19
	v_mul_f32_e32 v25, 0x3df6dbef, v20
	v_add_f32_e32 v23, v23, v27
	v_mul_f32_e32 v27, 0xbe750f2a, v22
	v_add_f32_e32 v24, v24, v28
	v_mov_b32_e32 v26, v25
	v_fmac_f32_e32 v25, 0xbf7e222b, v21
	v_mov_b32_e32 v28, v27
	v_fma_f32 v27, v19, s13, -v27
	v_fmac_f32_e32 v26, 0x3f7e222b, v21
	v_add_f32_e32 v25, v25, v29
	v_fmac_f32_e32 v28, 0xbf788fa5, v19
	v_mul_f32_e32 v29, 0xbf788fa5, v20
	v_add_f32_e32 v27, v27, v30
	v_mul_f32_e32 v30, 0x3f6f5d39, v22
	v_add_f32_e32 v26, v26, v31
	v_add_f32_e32 v28, v28, v32
	v_mov_b32_e32 v31, v29
	v_fmac_f32_e32 v29, 0xbe750f2a, v21
	v_mov_b32_e32 v32, v30
	v_fma_f32 v30, v19, s3, -v30
	v_fmac_f32_e32 v31, 0x3e750f2a, v21
	v_add_f32_e32 v29, v29, v33
	v_fmac_f32_e32 v32, 0xbeb58ec6, v19
	v_mul_f32_e32 v33, 0xbeb58ec6, v20
	v_add_f32_e32 v30, v30, v36
	v_mul_f32_e32 v36, 0x3eedf032, v22
	v_add_f32_e32 v31, v31, v35
	;; [unrolled: 12-line block ×3, first 2 shown]
	v_add_f32_e32 v37, v37, v41
	v_mov_b32_e32 v39, v38
	v_fmac_f32_e32 v38, 0x3eedf032, v21
	v_mov_b32_e32 v41, v40
	v_add_f32_e32 v38, v38, v42
	v_fmac_f32_e32 v41, 0x3f116cb1, v19
	v_mul_f32_e32 v42, 0x3f116cb1, v20
	v_fma_f32 v40, v19, s1, -v40
	v_mul_f32_e32 v22, 0xbf29c268, v22
	v_mul_f32_e32 v20, 0xbf3f9e67, v20
	v_add_f32_e32 v41, v41, v45
	v_add_f32_e32 v40, v40, v44
	v_mov_b32_e32 v44, v22
	v_mov_b32_e32 v45, v20
	v_fmac_f32_e32 v20, 0xbf29c268, v21
	v_fmac_f32_e32 v44, 0xbf3f9e67, v19
	v_fma_f32 v19, v19, s12, -v22
	v_add_f32_e32 v18, v20, v18
	v_add_f32_e32 v20, v15, v12
	v_sub_f32_e32 v12, v12, v15
	v_fmac_f32_e32 v39, 0xbeedf032, v21
	v_add_f32_e32 v17, v19, v17
	v_add_f32_e32 v19, v14, v11
	v_sub_f32_e32 v11, v11, v14
	v_mul_f32_e32 v14, 0xbf6f5d39, v12
	v_add_f32_e32 v39, v39, v43
	v_mov_b32_e32 v43, v42
	v_mov_b32_e32 v15, v14
	v_fma_f32 v14, v19, s3, -v14
	v_fmac_f32_e32 v43, 0x3f52af12, v21
	v_fmac_f32_e32 v42, 0xbf52af12, v21
	;; [unrolled: 1-line block ×4, first 2 shown]
	v_mul_f32_e32 v21, 0xbeb58ec6, v20
	v_add_f32_e32 v14, v14, v23
	v_mul_f32_e32 v23, 0x3f29c268, v12
	v_add_f32_e32 v15, v15, v24
	v_mov_b32_e32 v22, v21
	v_fmac_f32_e32 v21, 0xbf6f5d39, v11
	v_mov_b32_e32 v24, v23
	v_fma_f32 v23, v19, s12, -v23
	v_fmac_f32_e32 v22, 0x3f6f5d39, v11
	v_add_f32_e32 v21, v21, v25
	v_fmac_f32_e32 v24, 0xbf3f9e67, v19
	v_mul_f32_e32 v25, 0xbf3f9e67, v20
	v_add_f32_e32 v23, v23, v27
	v_mul_f32_e32 v27, 0x3eedf032, v12
	v_add_f32_e32 v22, v22, v26
	v_add_f32_e32 v24, v24, v28
	v_mov_b32_e32 v26, v25
	v_fmac_f32_e32 v25, 0x3f29c268, v11
	v_mov_b32_e32 v28, v27
	v_fma_f32 v27, v19, s0, -v27
	v_fmac_f32_e32 v26, 0xbf29c268, v11
	v_add_f32_e32 v25, v25, v29
	v_fmac_f32_e32 v28, 0x3f62ad3f, v19
	v_mul_f32_e32 v29, 0x3f62ad3f, v20
	v_add_f32_e32 v27, v27, v30
	v_mul_f32_e32 v30, 0xbf7e222b, v12
	v_add_f32_e32 v26, v26, v31
	;; [unrolled: 12-line block ×3, first 2 shown]
	v_add_f32_e32 v32, v32, v37
	v_mov_b32_e32 v35, v33
	v_fmac_f32_e32 v33, 0xbf7e222b, v11
	v_mov_b32_e32 v37, v36
	v_fmac_f32_e32 v35, 0x3f7e222b, v11
	v_add_f32_e32 v33, v33, v38
	v_fmac_f32_e32 v37, 0xbf788fa5, v19
	v_mul_f32_e32 v38, 0xbf788fa5, v20
	v_mul_f32_e32 v20, 0x3f116cb1, v20
	v_add_f32_e32 v35, v35, v39
	v_add_f32_e32 v37, v37, v41
	v_mov_b32_e32 v39, v38
	v_fma_f32 v36, v19, s13, -v36
	v_mul_f32_e32 v12, 0x3f52af12, v12
	v_mov_b32_e32 v41, v20
	v_fmac_f32_e32 v20, 0x3f52af12, v11
	v_fmac_f32_e32 v39, 0xbe750f2a, v11
	v_add_f32_e32 v36, v36, v40
	v_fmac_f32_e32 v38, 0x3e750f2a, v11
	v_mov_b32_e32 v40, v12
	v_fmac_f32_e32 v41, 0xbf52af12, v11
	v_fma_f32 v12, v19, s1, -v12
	v_add_f32_e32 v11, v20, v18
	v_add_f32_e32 v18, v10, v8
	v_sub_f32_e32 v8, v8, v10
	v_add_f32_e32 v12, v12, v17
	v_add_f32_e32 v17, v9, v7
	v_sub_f32_e32 v7, v7, v9
	v_mul_f32_e32 v9, 0xbf29c268, v8
	v_mov_b32_e32 v10, v9
	v_fmac_f32_e32 v10, 0xbf3f9e67, v17
	v_add_f32_e32 v10, v10, v15
	v_mul_f32_e32 v15, 0xbf3f9e67, v18
	v_fmac_f32_e32 v40, 0x3f116cb1, v19
	v_mov_b32_e32 v19, v15
	v_fma_f32 v9, v17, s12, -v9
	v_fmac_f32_e32 v15, 0xbf29c268, v7
	v_add_f32_e32 v9, v9, v14
	v_add_f32_e32 v14, v15, v21
	v_mul_f32_e32 v15, 0x3f7e222b, v8
	v_mov_b32_e32 v20, v15
	v_fma_f32 v15, v17, s2, -v15
	v_fmac_f32_e32 v19, 0x3f29c268, v7
	v_fmac_f32_e32 v20, 0x3df6dbef, v17
	v_mul_f32_e32 v21, 0x3df6dbef, v18
	v_add_f32_e32 v15, v15, v23
	v_mul_f32_e32 v23, 0xbf52af12, v8
	v_add_f32_e32 v19, v19, v22
	v_add_f32_e32 v20, v20, v24
	v_mov_b32_e32 v22, v21
	v_fmac_f32_e32 v21, 0x3f7e222b, v7
	v_mov_b32_e32 v24, v23
	v_fma_f32 v23, v17, s1, -v23
	v_fmac_f32_e32 v22, 0xbf7e222b, v7
	v_add_f32_e32 v21, v21, v25
	v_fmac_f32_e32 v24, 0x3f116cb1, v17
	v_mul_f32_e32 v25, 0x3f116cb1, v18
	v_add_f32_e32 v23, v23, v27
	v_mul_f32_e32 v27, 0x3e750f2a, v8
	v_add_f32_e32 v22, v22, v26
	v_add_f32_e32 v24, v24, v28
	v_mov_b32_e32 v26, v25
	v_fmac_f32_e32 v25, 0xbf52af12, v7
	v_mov_b32_e32 v28, v27
	v_fma_f32 v27, v17, s13, -v27
	v_fmac_f32_e32 v26, 0x3f52af12, v7
	v_add_f32_e32 v25, v25, v29
	v_fmac_f32_e32 v28, 0xbf788fa5, v17
	v_mul_f32_e32 v29, 0xbf788fa5, v18
	v_add_f32_e32 v27, v27, v30
	v_mul_f32_e32 v30, 0x3eedf032, v8
	v_add_f32_e32 v47, v47, v51
	v_add_f32_e32 v48, v48, v52
	;; [unrolled: 1-line block ×4, first 2 shown]
	v_mov_b32_e32 v31, v29
	v_fmac_f32_e32 v29, 0x3e750f2a, v7
	v_mov_b32_e32 v32, v30
	v_fma_f32 v30, v17, s0, -v30
	v_mul_f32_e32 v8, 0xbf6f5d39, v8
	v_add_f32_e32 v46, v46, v50
	v_add_f32_e32 v49, v49, v53
	;; [unrolled: 1-line block ×5, first 2 shown]
	v_fmac_f32_e32 v32, 0x3f62ad3f, v17
	v_mul_f32_e32 v33, 0x3f62ad3f, v18
	v_add_f32_e32 v30, v30, v36
	v_mov_b32_e32 v36, v8
	v_mul_f32_e32 v18, 0xbeb58ec6, v18
	v_add_f32_e32 v42, v42, v46
	v_add_f32_e32 v45, v45, v49
	;; [unrolled: 1-line block ×5, first 2 shown]
	v_fmac_f32_e32 v36, 0xbeb58ec6, v17
	v_mov_b32_e32 v37, v18
	v_sub_f32_e32 v43, v4, v6
	v_add_f32_e32 v38, v38, v42
	v_add_f32_e32 v41, v41, v45
	v_fmac_f32_e32 v31, 0xbe750f2a, v7
	v_add_f32_e32 v36, v36, v40
	v_fmac_f32_e32 v37, 0x3f6f5d39, v7
	v_add_f32_e32 v40, v5, v3
	v_sub_f32_e32 v42, v3, v5
	v_mul_f32_e32 v3, 0xbe750f2a, v43
	v_add_f32_e32 v31, v31, v35
	v_mov_b32_e32 v35, v33
	v_add_f32_e32 v37, v37, v41
	v_add_f32_e32 v41, v6, v4
	v_mov_b32_e32 v4, v3
	v_fmac_f32_e32 v35, 0xbeedf032, v7
	v_fmac_f32_e32 v18, 0xbf6f5d39, v7
	;; [unrolled: 1-line block ×3, first 2 shown]
	v_add_f32_e32 v35, v35, v39
	v_add_f32_e32 v39, v18, v11
	;; [unrolled: 1-line block ×3, first 2 shown]
	v_mul_f32_e32 v4, 0xbf788fa5, v41
	v_mov_b32_e32 v5, v4
	v_fmac_f32_e32 v33, 0x3eedf032, v7
	v_fma_f32 v8, v17, s3, -v8
	v_fmac_f32_e32 v5, 0x3e750f2a, v42
	v_add_f32_e32 v33, v33, v38
	v_add_f32_e32 v38, v8, v12
	v_add_f32_e32 v12, v5, v19
	v_mul_f32_e32 v5, 0x3eedf032, v43
	v_mov_b32_e32 v6, v5
	v_fmac_f32_e32 v6, 0x3f62ad3f, v40
	v_add_f32_e32 v17, v6, v20
	v_mul_f32_e32 v6, 0x3f62ad3f, v41
	v_mov_b32_e32 v7, v6
	v_fmac_f32_e32 v7, 0xbeedf032, v42
	v_add_f32_e32 v18, v7, v22
	v_mul_f32_e32 v7, 0xbf29c268, v43
	v_mov_b32_e32 v8, v7
	v_fmac_f32_e32 v8, 0xbf3f9e67, v40
	v_fma_f32 v3, v40, s13, -v3
	v_add_f32_e32 v19, v8, v24
	v_mul_f32_e32 v8, 0xbf3f9e67, v41
	v_add_f32_e32 v3, v3, v9
	v_mov_b32_e32 v9, v8
	v_fmac_f32_e32 v9, 0x3f29c268, v42
	v_add_f32_e32 v20, v9, v26
	v_mul_f32_e32 v9, 0x3f52af12, v43
	v_mov_b32_e32 v10, v9
	v_fmac_f32_e32 v6, 0x3eedf032, v42
	v_fmac_f32_e32 v10, 0x3f116cb1, v40
	;; [unrolled: 1-line block ×3, first 2 shown]
	v_add_f32_e32 v6, v6, v21
	v_add_f32_e32 v21, v10, v28
	v_mul_f32_e32 v10, 0x3f116cb1, v41
	v_add_f32_e32 v4, v4, v14
	v_mov_b32_e32 v14, v10
	v_fmac_f32_e32 v14, 0xbf52af12, v42
	v_fma_f32 v5, v40, s0, -v5
	v_add_f32_e32 v22, v14, v31
	v_mul_f32_e32 v14, 0xbf6f5d39, v43
	v_add_f32_e32 v5, v5, v15
	v_mov_b32_e32 v15, v14
	v_fma_f32 v7, v40, s12, -v7
	v_fmac_f32_e32 v15, 0xbeb58ec6, v40
	v_add_f32_e32 v7, v7, v23
	v_fmac_f32_e32 v8, 0xbf29c268, v42
	v_add_f32_e32 v23, v15, v32
	v_mul_f32_e32 v15, 0xbeb58ec6, v41
	v_fma_f32 v14, v40, s3, -v14
	v_add_f32_e32 v8, v8, v25
	v_mov_b32_e32 v24, v15
	v_add_f32_e32 v25, v14, v30
	v_fmac_f32_e32 v15, 0xbf6f5d39, v42
	v_mul_f32_e32 v14, 0x3f7e222b, v43
	v_add_f32_e32 v26, v15, v33
	v_mov_b32_e32 v15, v14
	v_fma_f32 v9, v40, s1, -v9
	v_fmac_f32_e32 v15, 0x3df6dbef, v40
	v_add_f32_e32 v9, v9, v27
	v_fmac_f32_e32 v10, 0x3f52af12, v42
	v_add_f32_e32 v27, v15, v36
	v_mul_f32_e32 v15, 0x3df6dbef, v41
	v_fma_f32 v14, v40, s2, -v14
	v_add_f32_e32 v10, v10, v29
	v_mov_b32_e32 v28, v15
	v_add_f32_e32 v29, v14, v38
	v_fmac_f32_e32 v15, 0x3f7e222b, v42
	v_mad_u32_u24 v14, v16, s18, 0
	v_fmac_f32_e32 v24, 0x3f6f5d39, v42
	v_fmac_f32_e32 v28, 0xbf7e222b, v42
	v_add_f32_e32 v30, v15, v39
	v_lshl_add_u32 v15, v34, 3, v14
	v_add_f32_e32 v24, v24, v35
	v_add_f32_e32 v28, v28, v37
	ds_write2_b64 v15, v[1:2], v[11:12] offset1:12
	ds_write2_b64 v15, v[17:18], v[19:20] offset0:24 offset1:36
	ds_write2_b64 v15, v[21:22], v[23:24] offset0:48 offset1:60
	ds_write2_b64 v15, v[27:28], v[29:30] offset0:72 offset1:84
	ds_write2_b64 v15, v[25:26], v[9:10] offset0:96 offset1:108
	ds_write2_b64 v15, v[7:8], v[5:6] offset0:120 offset1:132
	ds_write_b64 v15, v[3:4] offset:1152
	s_waitcnt lgkmcnt(0)
	s_barrier
	s_and_saveexec_b64 s[18:19], vcc
	s_cbranch_execz .LBB0_14
; %bb.13:
	v_mul_lo_u16_e32 v1, 20, v16
	v_mov_b32_e32 v2, 13
	v_mul_lo_u16_sdwa v1, v1, v2 dst_sel:DWORD dst_unused:UNUSED_PAD src0_sel:BYTE_1 src1_sel:DWORD
	v_sub_u16_e32 v1, v16, v1
	v_and_b32_e32 v35, 0xff, v1
	v_mul_u32_u24_e32 v1, 12, v35
	v_lshlrev_b32_e32 v1, 3, v1
	global_load_dwordx4 v[26:29], v1, s[28:29] offset:32
	global_load_dwordx4 v[30:33], v1, s[28:29] offset:48
	;; [unrolled: 1-line block ×4, first 2 shown]
	global_load_dwordx4 v[9:12], v1, s[28:29]
	global_load_dwordx4 v[5:8], v1, s[28:29] offset:80
	v_mul_i32_i24_e32 v1, 0xfffffb80, v16
	v_lshlrev_b32_e32 v2, 3, v34
	v_add3_u32 v14, v14, v1, v2
	v_add_u32_e32 v15, 0x1c00, v14
	v_add_u32_e32 v16, 0x1200, v14
	;; [unrolled: 1-line block ×5, first 2 shown]
	ds_read2_b64 v[1:4], v14 offset1:156
	ds_read_b64 v[20:21], v14 offset:14976
	ds_read2_b64 v[48:51], v15 offset0:40 offset1:196
	ds_read2_b64 v[66:69], v16 offset0:48 offset1:204
	;; [unrolled: 1-line block ×5, first 2 shown]
	v_add_u32_e32 v14, 0x9c, v35
	v_add_u32_e32 v15, 0x8f, v35
	v_mul_lo_u32 v61, v13, v14
	v_add_u32_e32 v14, 0x82, v35
	v_mul_lo_u32 v60, v13, v15
	v_mul_lo_u32 v14, v13, v14
	v_mov_b32_e32 v36, 3
	v_lshlrev_b32_sdwa v38, v36, v61 dst_sel:DWORD dst_unused:UNUSED_PAD src0_sel:DWORD src1_sel:BYTE_0
	v_lshlrev_b32_sdwa v39, v36, v61 dst_sel:DWORD dst_unused:UNUSED_PAD src0_sel:DWORD src1_sel:BYTE_1
	v_lshlrev_b32_sdwa v40, v36, v60 dst_sel:DWORD dst_unused:UNUSED_PAD src0_sel:DWORD src1_sel:BYTE_0
	v_lshlrev_b32_sdwa v41, v36, v60 dst_sel:DWORD dst_unused:UNUSED_PAD src0_sel:DWORD src1_sel:BYTE_1
	;; [unrolled: 2-line block ×3, first 2 shown]
	v_bfe_u32 v82, v14, 16, 8
	global_load_dwordx2 v[22:23], v38, s[16:17]
	global_load_dwordx2 v[24:25], v39, s[16:17] offset:2048
	global_load_dwordx2 v[16:17], v40, s[16:17]
	global_load_dwordx2 v[18:19], v41, s[16:17] offset:2048
	global_load_dwordx2 v[14:15], v42, s[16:17] offset:2048
	v_mov_b32_e32 v37, 0x1000
	v_bfe_u32 v60, v60, 16, 8
	v_bfe_u32 v61, v61, 16, 8
	v_lshl_or_b32 v60, v60, 3, v37
	v_lshl_or_b32 v61, v61, 3, v37
	s_waitcnt vmcnt(10) lgkmcnt(4)
	v_mul_f32_e32 v38, v49, v29
	s_waitcnt vmcnt(9)
	v_mul_f32_e32 v39, v51, v31
	v_mul_f32_e32 v29, v48, v29
	;; [unrolled: 1-line block ×3, first 2 shown]
	s_waitcnt lgkmcnt(3)
	v_mul_f32_e32 v41, v69, v27
	v_mul_f32_e32 v27, v68, v27
	s_waitcnt vmcnt(8)
	v_mul_f32_e32 v43, v67, v57
	v_mul_f32_e32 v52, v57, v66
	s_waitcnt vmcnt(7) lgkmcnt(2)
	v_mul_f32_e32 v57, v72, v63
	s_waitcnt lgkmcnt(1)
	v_mul_f32_e32 v46, v55, v77
	v_mul_f32_e32 v55, v55, v76
	s_waitcnt lgkmcnt(0)
	v_mul_f32_e32 v58, v78, v65
	s_waitcnt vmcnt(6)
	v_mul_f32_e32 v47, v12, v75
	v_mul_f32_e32 v12, v12, v74
	s_waitcnt vmcnt(5)
	v_mul_f32_e32 v45, v81, v6
	v_mul_f32_e32 v6, v80, v6
	v_fmac_f32_e32 v38, v48, v28
	v_fma_f32 v48, v49, v28, -v29
	v_fma_f32 v49, v51, v30, -v31
	v_fmac_f32_e32 v41, v68, v26
	v_fma_f32 v51, v69, v26, -v27
	v_fmac_f32_e32 v43, v56, v66
	v_fma_f32 v53, v67, v56, -v52
	v_fma_f32 v52, v73, v62, -v57
	v_fmac_f32_e32 v46, v54, v76
	v_fma_f32 v57, v54, v77, -v55
	;; [unrolled: 3-line block ×3, first 2 shown]
	v_fmac_f32_e32 v45, v80, v5
	v_fma_f32 v56, v81, v5, -v6
	v_lshl_or_b32 v26, v82, 3, v37
	global_load_dwordx2 v[11:12], v59, s[16:17]
	global_load_dwordx2 v[5:6], v26, s[16:17]
	v_mul_f32_e32 v42, v73, v63
	v_add_u32_e32 v26, 0x75, v35
	v_fmac_f32_e32 v42, v72, v62
	v_mul_lo_u32 v62, v13, v26
	v_fmac_f32_e32 v39, v50, v30
	v_add_u32_e32 v26, 0x68, v35
	v_mul_lo_u32 v63, v13, v26
	v_lshlrev_b32_sdwa v30, v36, v62 dst_sel:DWORD dst_unused:UNUSED_PAD src0_sel:DWORD src1_sel:BYTE_0
	v_lshlrev_b32_sdwa v31, v36, v62 dst_sel:DWORD dst_unused:UNUSED_PAD src0_sel:DWORD src1_sel:BYTE_1
	global_load_dwordx2 v[26:27], v30, s[16:17]
	global_load_dwordx2 v[28:29], v31, s[16:17] offset:2048
	v_add_u32_e32 v30, 0x5b, v35
	v_mul_lo_u32 v96, v13, v30
	v_mul_f32_e32 v44, v79, v65
	v_mul_f32_e32 v40, v71, v33
	v_mul_f32_e32 v33, v70, v33
	v_fmac_f32_e32 v44, v78, v64
	v_lshlrev_b32_sdwa v64, v36, v63 dst_sel:DWORD dst_unused:UNUSED_PAD src0_sel:DWORD src1_sel:BYTE_0
	v_fmac_f32_e32 v40, v70, v32
	v_fma_f32 v50, v71, v32, -v33
	v_lshlrev_b32_sdwa v65, v36, v63 dst_sel:DWORD dst_unused:UNUSED_PAD src0_sel:DWORD src1_sel:BYTE_1
	global_load_dwordx2 v[30:31], v64, s[16:17]
	global_load_dwordx2 v[32:33], v65, s[16:17] offset:2048
	v_add_u32_e32 v64, 0x4e, v35
	v_lshlrev_b32_sdwa v68, v36, v96 dst_sel:DWORD dst_unused:UNUSED_PAD src0_sel:DWORD src1_sel:BYTE_0
	v_mul_lo_u32 v97, v13, v64
	v_lshlrev_b32_sdwa v69, v36, v96 dst_sel:DWORD dst_unused:UNUSED_PAD src0_sel:DWORD src1_sel:BYTE_1
	global_load_dwordx2 v[64:65], v68, s[16:17]
	global_load_dwordx2 v[66:67], v69, s[16:17] offset:2048
	v_add_u32_e32 v68, 0x41, v35
	v_mul_lo_u32 v98, v13, v68
	v_lshlrev_b32_sdwa v68, v36, v97 dst_sel:DWORD dst_unused:UNUSED_PAD src0_sel:DWORD src1_sel:BYTE_0
	v_lshlrev_b32_sdwa v70, v36, v97 dst_sel:DWORD dst_unused:UNUSED_PAD src0_sel:DWORD src1_sel:BYTE_1
	v_add_u32_e32 v72, 52, v35
	v_lshlrev_b32_sdwa v76, v36, v98 dst_sel:DWORD dst_unused:UNUSED_PAD src0_sel:DWORD src1_sel:BYTE_0
	global_load_dwordx2 v[68:69], v68, s[16:17]
	v_lshlrev_b32_sdwa v77, v36, v98 dst_sel:DWORD dst_unused:UNUSED_PAD src0_sel:DWORD src1_sel:BYTE_1
	global_load_dwordx2 v[70:71], v70, s[16:17] offset:2048
	v_mul_lo_u32 v99, v13, v72
	global_load_dwordx2 v[72:73], v76, s[16:17]
	global_load_dwordx2 v[74:75], v77, s[16:17] offset:2048
	v_add_u32_e32 v76, 39, v35
	v_mul_lo_u32 v100, v13, v76
	v_lshlrev_b32_sdwa v80, v36, v99 dst_sel:DWORD dst_unused:UNUSED_PAD src0_sel:DWORD src1_sel:BYTE_0
	v_lshlrev_b32_sdwa v81, v36, v99 dst_sel:DWORD dst_unused:UNUSED_PAD src0_sel:DWORD src1_sel:BYTE_1
	global_load_dwordx2 v[76:77], v80, s[16:17]
	global_load_dwordx2 v[78:79], v81, s[16:17] offset:2048
	v_add_u32_e32 v80, 26, v35
	v_lshlrev_b32_sdwa v84, v36, v100 dst_sel:DWORD dst_unused:UNUSED_PAD src0_sel:DWORD src1_sel:BYTE_0
	v_lshlrev_b32_sdwa v85, v36, v100 dst_sel:DWORD dst_unused:UNUSED_PAD src0_sel:DWORD src1_sel:BYTE_1
	v_mul_lo_u32 v101, v13, v80
	global_load_dwordx2 v[80:81], v84, s[16:17]
	global_load_dwordx2 v[82:83], v85, s[16:17] offset:2048
	v_add_u32_e32 v85, 13, v35
	v_mul_lo_u32 v102, v13, v85
	v_mul_f32_e32 v55, v10, v4
	v_fmac_f32_e32 v55, v9, v3
	v_lshlrev_b32_sdwa v84, v36, v101 dst_sel:DWORD dst_unused:UNUSED_PAD src0_sel:DWORD src1_sel:BYTE_0
	v_lshlrev_b32_sdwa v86, v36, v101 dst_sel:DWORD dst_unused:UNUSED_PAD src0_sel:DWORD src1_sel:BYTE_1
	v_lshlrev_b32_sdwa v92, v36, v102 dst_sel:DWORD dst_unused:UNUSED_PAD src0_sel:DWORD src1_sel:BYTE_0
	v_lshlrev_b32_sdwa v93, v36, v102 dst_sel:DWORD dst_unused:UNUSED_PAD src0_sel:DWORD src1_sel:BYTE_1
	v_mul_f32_e32 v3, v10, v3
	v_mul_f32_e32 v59, v21, v8
	global_load_dwordx2 v[84:85], v84, s[16:17]
	v_fmac_f32_e32 v59, v20, v7
	global_load_dwordx2 v[86:87], v86, s[16:17] offset:2048
	s_nop 0
	global_load_dwordx2 v[88:89], v92, s[16:17]
	global_load_dwordx2 v[90:91], v93, s[16:17] offset:2048
	s_nop 0
	global_load_dwordx2 v[92:93], v60, s[16:17]
	global_load_dwordx2 v[94:95], v61, s[16:17]
	v_fma_f32 v60, v9, v4, -v3
	v_mul_f32_e32 v3, v20, v8
	v_fma_f32 v20, v21, v7, -v3
	s_waitcnt vmcnt(25)
	v_mul_f32_e32 v3, v23, v25
	v_bfe_u32 v7, v63, 16, 8
	v_fma_f32 v103, v22, v24, -v3
	v_bfe_u32 v3, v62, 16, 8
	v_lshl_or_b32 v21, v7, 3, v37
	v_bfe_u32 v7, v96, 16, 8
	v_mul_f32_e32 v25, v22, v25
	v_lshl_or_b32 v3, v3, 3, v37
	v_lshl_or_b32 v22, v7, 3, v37
	global_load_dwordx2 v[3:4], v3, s[16:17]
	s_nop 0
	global_load_dwordx2 v[7:8], v22, s[16:17]
	global_load_dwordx2 v[9:10], v21, s[16:17]
	s_waitcnt vmcnt(26)
	v_mul_f32_e32 v21, v17, v19
	v_fma_f32 v63, v16, v18, -v21
	v_mul_f32_e32 v16, v16, v19
	v_bfe_u32 v19, v97, 16, 8
	v_lshl_or_b32 v19, v19, 3, v37
	global_load_dwordx2 v[21:22], v19, s[16:17]
	v_bfe_u32 v19, v98, 16, 8
	v_lshl_or_b32 v19, v19, 3, v37
	v_bfe_u32 v61, v100, 16, 8
	v_fmac_f32_e32 v25, v23, v24
	global_load_dwordx2 v[23:24], v19, s[16:17]
	v_bfe_u32 v19, v99, 16, 8
	v_lshl_or_b32 v98, v61, 3, v37
	v_fmac_f32_e32 v16, v17, v18
	s_waitcnt vmcnt(26)
	v_mul_f32_e32 v17, v12, v15
	v_lshl_or_b32 v19, v19, 3, v37
	global_load_dwordx2 v[61:62], v98, s[16:17]
	global_load_dwordx2 v[96:97], v19, s[16:17]
	v_fma_f32 v17, v11, v14, -v17
	v_mul_f32_e32 v15, v11, v15
	v_bfe_u32 v11, v101, 16, 8
	v_lshl_or_b32 v11, v11, 3, v37
	v_bfe_u32 v18, v102, 16, 8
	v_fmac_f32_e32 v15, v12, v14
	global_load_dwordx2 v[11:12], v11, s[16:17]
	v_lshl_or_b32 v18, v18, 3, v37
	global_load_dwordx2 v[18:19], v18, s[16:17]
	s_waitcnt vmcnt(27)
	v_mul_f32_e32 v14, v27, v29
	v_fma_f32 v14, v26, v28, -v14
	v_mul_f32_e32 v26, v26, v29
	v_fmac_f32_e32 v26, v27, v28
	s_waitcnt vmcnt(25)
	v_mul_f32_e32 v27, v31, v33
	s_waitcnt vmcnt(23)
	v_mul_f32_e32 v29, v65, v67
	v_fma_f32 v27, v30, v32, -v27
	v_mul_f32_e32 v28, v30, v33
	v_fma_f32 v29, v64, v66, -v29
	v_mul_f32_e32 v30, v64, v67
	v_fmac_f32_e32 v30, v65, v66
	v_fmac_f32_e32 v28, v31, v32
	s_waitcnt vmcnt(21)
	v_mul_f32_e32 v31, v69, v71
	v_mul_f32_e32 v32, v68, v71
	s_waitcnt vmcnt(19)
	v_mul_f32_e32 v33, v73, v75
	v_mul_f32_e32 v64, v72, v75
	v_fma_f32 v33, v72, v74, -v33
	v_fmac_f32_e32 v64, v73, v74
	v_fma_f32 v31, v68, v70, -v31
	s_waitcnt vmcnt(17)
	v_mul_f32_e32 v66, v76, v79
	v_mul_f32_e32 v65, v77, v79
	v_fmac_f32_e32 v66, v77, v78
	v_mul_f32_e32 v77, v17, v6
	v_fma_f32 v65, v76, v78, -v65
	v_fmac_f32_e32 v77, v5, v15
	s_waitcnt vmcnt(15)
	v_mul_f32_e32 v67, v81, v83
	v_fmac_f32_e32 v32, v69, v70
	v_fma_f32 v67, v80, v82, -v67
	v_mul_f32_e32 v68, v80, v83
	v_fmac_f32_e32 v68, v81, v82
	v_add_f32_e32 v98, v41, v40
	v_add_f32_e32 v100, v38, v39
	v_mul_lo_u32 v13, v13, v35
	s_waitcnt vmcnt(13)
	v_mul_f32_e32 v69, v85, v87
	v_fma_f32 v69, v84, v86, -v69
	s_waitcnt vmcnt(9)
	v_mul_f32_e32 v74, v103, v95
	v_mul_f32_e32 v73, v25, v95
	v_fmac_f32_e32 v74, v94, v25
	v_mul_f32_e32 v25, v16, v93
	v_fma_f32 v75, v92, v63, -v25
	v_mul_f32_e32 v63, v63, v93
	v_fmac_f32_e32 v63, v92, v16
	v_mul_f32_e32 v16, v15, v6
	v_fma_f32 v76, v5, v17, -v16
	v_mul_f32_e32 v70, v84, v87
	v_fmac_f32_e32 v70, v85, v86
	v_mul_f32_e32 v71, v89, v91
	v_mul_f32_e32 v72, v88, v91
	s_waitcnt vmcnt(8)
	v_mul_f32_e32 v5, v26, v4
	v_mul_f32_e32 v79, v14, v4
	v_fma_f32 v78, v3, v14, -v5
	v_fmac_f32_e32 v79, v3, v26
	s_waitcnt vmcnt(6)
	v_mul_f32_e32 v3, v28, v10
	v_fma_f32 v80, v9, v27, -v3
	v_mul_f32_e32 v3, v30, v8
	v_fma_f32 v82, v7, v29, -v3
	s_waitcnt vmcnt(5)
	v_mul_f32_e32 v3, v32, v22
	v_fma_f32 v84, v21, v31, -v3
	v_mul_f32_e32 v85, v31, v22
	v_fma_f32 v71, v88, v90, -v71
	s_waitcnt vmcnt(4)
	v_mul_f32_e32 v3, v64, v24
	v_fma_f32 v86, v23, v33, -v3
	v_fmac_f32_e32 v72, v89, v90
	v_fmac_f32_e32 v85, v21, v32
	v_sub_f32_e32 v32, v55, v59
	v_mul_f32_e32 v33, v33, v24
	s_waitcnt vmcnt(2)
	v_mul_f32_e32 v3, v66, v97
	v_fma_f32 v87, v96, v65, -v3
	v_mul_f32_e32 v3, v68, v62
	v_fma_f32 v21, v61, v67, -v3
	v_sub_f32_e32 v31, v47, v45
	v_mul_f32_e32 v22, 0xbeedf032, v32
	v_fmac_f32_e32 v33, v23, v64
	s_waitcnt vmcnt(1)
	v_mul_f32_e32 v3, v70, v12
	v_fma_f32 v16, v11, v69, -v3
	s_waitcnt vmcnt(0)
	v_mul_f32_e32 v3, v72, v19
	v_mul_f32_e32 v15, v71, v19
	;; [unrolled: 1-line block ×3, first 2 shown]
	v_fma_f32 v14, v18, v71, -v3
	v_fmac_f32_e32 v15, v18, v72
	v_mul_f32_e32 v18, 0xbf52af12, v31
	v_add_f32_e32 v24, v60, v20
	v_mov_b32_e32 v4, v22
	v_fmac_f32_e32 v23, v61, v68
	v_add_f32_e32 v19, v58, v56
	v_mov_b32_e32 v3, v18
	v_fmac_f32_e32 v4, 0x3f62ad3f, v24
	v_sub_f32_e32 v61, v46, v44
	v_fmac_f32_e32 v3, 0x3f116cb1, v19
	v_add_f32_e32 v4, v4, v2
	v_mul_f32_e32 v25, 0xbf7e222b, v61
	v_add_f32_e32 v3, v3, v4
	v_add_f32_e32 v26, v57, v54
	v_mov_b32_e32 v4, v25
	v_sub_f32_e32 v62, v43, v42
	v_mul_f32_e32 v81, v27, v10
	v_fmac_f32_e32 v4, 0x3df6dbef, v26
	v_mul_f32_e32 v27, 0xbf6f5d39, v62
	v_fmac_f32_e32 v81, v9, v28
	v_add_f32_e32 v3, v4, v3
	v_add_f32_e32 v28, v53, v52
	v_mov_b32_e32 v4, v27
	v_sub_f32_e32 v64, v41, v40
	v_mul_f32_e32 v65, v65, v97
	v_fmac_f32_e32 v4, 0xbeb58ec6, v28
	v_mul_f32_e32 v88, 0xbf29c268, v64
	v_fmac_f32_e32 v65, v96, v66
	v_add_f32_e32 v3, v4, v3
	v_add_f32_e32 v89, v51, v50
	v_mov_b32_e32 v4, v88
	v_sub_f32_e32 v66, v38, v39
	v_fmac_f32_e32 v4, 0xbf3f9e67, v89
	v_mul_f32_e32 v90, 0xbe750f2a, v66
	v_mul_f32_e32 v83, v29, v8
	v_add_f32_e32 v3, v4, v3
	v_add_f32_e32 v91, v48, v49
	v_mov_b32_e32 v4, v90
	v_sub_f32_e32 v67, v60, v20
	v_fmac_f32_e32 v83, v7, v30
	v_fmac_f32_e32 v4, 0xbf788fa5, v91
	v_add_f32_e32 v29, v55, v59
	v_mul_f32_e32 v30, 0xbeedf032, v67
	v_sub_f32_e32 v68, v58, v56
	v_mul_f32_e32 v17, v69, v12
	v_add_f32_e32 v3, v4, v3
	v_fma_f32 v4, v29, s0, -v30
	v_add_f32_e32 v92, v47, v45
	v_mul_f32_e32 v93, 0xbf52af12, v68
	v_sub_f32_e32 v69, v57, v54
	v_fma_f32 v73, v94, v103, -v73
	v_fmac_f32_e32 v17, v11, v70
	v_add_f32_e32 v4, v4, v1
	v_fma_f32 v5, v92, s1, -v93
	v_add_f32_e32 v94, v46, v44
	v_mul_f32_e32 v95, 0xbf7e222b, v69
	v_sub_f32_e32 v70, v53, v52
	v_add_f32_e32 v4, v5, v4
	v_fma_f32 v5, v94, s2, -v95
	v_add_f32_e32 v96, v43, v42
	v_mul_f32_e32 v97, 0xbf6f5d39, v70
	v_sub_f32_e32 v71, v51, v50
	v_add_f32_e32 v4, v5, v4
	v_fma_f32 v5, v96, s3, -v97
	v_mul_f32_e32 v99, 0xbf29c268, v71
	v_sub_f32_e32 v72, v48, v49
	v_add_f32_e32 v4, v5, v4
	v_fma_f32 v5, v98, s12, -v99
	v_mul_f32_e32 v101, 0xbe750f2a, v72
	v_add_f32_e32 v4, v5, v4
	v_fma_f32 v5, v100, s13, -v101
	v_add_f32_e32 v5, v5, v4
	v_mul_f32_e32 v4, v5, v74
	v_fma_f32 v4, v3, v73, -v4
	v_mul_f32_e32 v3, v3, v74
	v_mul_f32_e32 v74, 0xbf52af12, v32
	v_fmac_f32_e32 v3, v5, v73
	v_mul_f32_e32 v73, 0xbf6f5d39, v31
	v_mov_b32_e32 v6, v74
	v_mov_b32_e32 v5, v73
	v_fmac_f32_e32 v6, 0x3f116cb1, v24
	v_fmac_f32_e32 v5, 0xbeb58ec6, v19
	v_add_f32_e32 v6, v6, v2
	v_mul_f32_e32 v102, 0xbe750f2a, v61
	v_add_f32_e32 v5, v5, v6
	v_mov_b32_e32 v6, v102
	v_fmac_f32_e32 v6, 0xbf788fa5, v26
	v_mul_f32_e32 v103, 0x3f29c268, v62
	v_add_f32_e32 v5, v6, v5
	v_mov_b32_e32 v6, v103
	v_fmac_f32_e32 v6, 0xbf3f9e67, v28
	v_mul_f32_e32 v104, 0x3f7e222b, v64
	v_add_f32_e32 v5, v6, v5
	v_mov_b32_e32 v6, v104
	v_fmac_f32_e32 v6, 0x3df6dbef, v89
	v_mul_f32_e32 v105, 0x3eedf032, v66
	v_add_f32_e32 v5, v6, v5
	v_mov_b32_e32 v6, v105
	v_fmac_f32_e32 v6, 0x3f62ad3f, v91
	v_mul_f32_e32 v106, 0xbf52af12, v67
	v_add_f32_e32 v5, v6, v5
	v_fma_f32 v6, v29, s1, -v106
	v_mul_f32_e32 v107, 0xbf6f5d39, v68
	v_add_f32_e32 v6, v6, v1
	v_fma_f32 v7, v92, s3, -v107
	v_mul_f32_e32 v108, 0xbe750f2a, v69
	v_add_f32_e32 v6, v7, v6
	v_fma_f32 v7, v94, s13, -v108
	v_mul_f32_e32 v109, 0x3f29c268, v70
	v_add_f32_e32 v6, v7, v6
	v_fma_f32 v7, v96, s12, -v109
	v_mul_f32_e32 v110, 0x3f7e222b, v71
	v_add_f32_e32 v6, v7, v6
	v_fma_f32 v7, v98, s2, -v110
	v_mul_f32_e32 v111, 0x3eedf032, v72
	v_add_f32_e32 v6, v7, v6
	v_fma_f32 v7, v100, s0, -v111
	v_add_f32_e32 v7, v7, v6
	v_mul_f32_e32 v6, v7, v63
	v_fma_f32 v6, v5, v75, -v6
	v_mul_f32_e32 v5, v5, v63
	v_mul_f32_e32 v112, 0xbf7e222b, v32
	v_fmac_f32_e32 v5, v7, v75
	v_mul_f32_e32 v75, 0xbe750f2a, v31
	v_mov_b32_e32 v8, v112
	v_mov_b32_e32 v7, v75
	v_fmac_f32_e32 v8, 0x3df6dbef, v24
	v_fmac_f32_e32 v7, 0xbf788fa5, v19
	v_add_f32_e32 v8, v8, v2
	v_mul_f32_e32 v113, 0x3f6f5d39, v61
	v_add_f32_e32 v7, v7, v8
	v_mov_b32_e32 v8, v113
	v_fmac_f32_e32 v8, 0xbeb58ec6, v26
	v_mul_f32_e32 v114, 0x3eedf032, v62
	v_add_f32_e32 v7, v8, v7
	v_mov_b32_e32 v8, v114
	v_fmac_f32_e32 v8, 0x3f62ad3f, v28
	v_mul_f32_e32 v115, 0xbf52af12, v64
	v_add_f32_e32 v7, v8, v7
	v_mov_b32_e32 v8, v115
	v_fmac_f32_e32 v8, 0x3f116cb1, v89
	v_mul_f32_e32 v116, 0xbf29c268, v66
	v_add_f32_e32 v7, v8, v7
	v_mov_b32_e32 v8, v116
	v_fmac_f32_e32 v8, 0xbf3f9e67, v91
	v_mul_f32_e32 v117, 0xbf7e222b, v67
	v_add_f32_e32 v7, v8, v7
	v_fma_f32 v8, v29, s2, -v117
	v_mul_f32_e32 v118, 0xbe750f2a, v68
	v_add_f32_e32 v8, v8, v1
	v_fma_f32 v9, v92, s13, -v118
	v_mul_f32_e32 v119, 0x3f6f5d39, v69
	v_add_f32_e32 v8, v9, v8
	v_fma_f32 v9, v94, s3, -v119
	v_mul_f32_e32 v120, 0x3eedf032, v70
	v_add_f32_e32 v8, v9, v8
	v_fma_f32 v9, v96, s0, -v120
	v_mul_f32_e32 v121, 0xbf52af12, v71
	;; [unrolled: 46-line block ×3, first 2 shown]
	v_add_f32_e32 v10, v11, v10
	v_fma_f32 v11, v98, s13, -v131
	v_mul_f32_e32 v132, 0x3f52af12, v72
	v_add_f32_e32 v10, v11, v10
	v_fma_f32 v11, v100, s1, -v132
	v_add_f32_e32 v11, v11, v10
	v_mul_f32_e32 v10, v11, v79
	v_fma_f32 v10, v9, v78, -v10
	v_mul_f32_e32 v9, v9, v79
	v_fmac_f32_e32 v9, v11, v78
	v_mul_f32_e32 v78, 0xbf29c268, v32
	v_mul_f32_e32 v63, 0x3f7e222b, v31
	v_mov_b32_e32 v12, v78
	v_mov_b32_e32 v11, v63
	v_fmac_f32_e32 v12, 0xbf3f9e67, v24
	v_fmac_f32_e32 v11, 0x3df6dbef, v19
	v_add_f32_e32 v12, v12, v2
	v_mul_f32_e32 v79, 0xbf52af12, v61
	v_add_f32_e32 v11, v11, v12
	v_mov_b32_e32 v12, v79
	v_fmac_f32_e32 v12, 0x3f116cb1, v26
	v_mul_f32_e32 v133, 0x3e750f2a, v62
	v_add_f32_e32 v11, v12, v11
	v_mov_b32_e32 v12, v133
	v_fmac_f32_e32 v12, 0xbf788fa5, v28
	;; [unrolled: 4-line block ×4, first 2 shown]
	v_mul_f32_e32 v136, 0xbf29c268, v67
	v_add_f32_e32 v11, v12, v11
	v_fma_f32 v12, v29, s12, -v136
	v_mul_f32_e32 v137, 0x3f7e222b, v68
	v_add_f32_e32 v12, v12, v1
	v_fma_f32 v138, v92, s2, -v137
	v_add_f32_e32 v12, v138, v12
	v_mul_f32_e32 v138, 0xbf52af12, v69
	v_fma_f32 v139, v94, s1, -v138
	v_add_f32_e32 v12, v139, v12
	v_mul_f32_e32 v139, 0x3e750f2a, v70
	;; [unrolled: 3-line block ×5, first 2 shown]
	v_fma_f32 v12, v11, v80, -v12
	v_mul_f32_e32 v11, v11, v81
	v_mul_f32_e32 v81, 0xbe750f2a, v32
	v_fmac_f32_e32 v11, v142, v80
	v_mul_f32_e32 v80, 0x3eedf032, v31
	v_mov_b32_e32 v32, v81
	v_mov_b32_e32 v31, v80
	v_fmac_f32_e32 v32, 0xbf788fa5, v24
	v_fmac_f32_e32 v31, 0x3f62ad3f, v19
	v_add_f32_e32 v32, v32, v2
	v_mul_f32_e32 v61, 0xbf29c268, v61
	v_add_f32_e32 v31, v31, v32
	v_mov_b32_e32 v32, v61
	v_fmac_f32_e32 v32, 0xbf3f9e67, v26
	v_mul_f32_e32 v62, 0x3f52af12, v62
	v_add_f32_e32 v31, v32, v31
	v_mov_b32_e32 v32, v62
	v_fmac_f32_e32 v32, 0x3f116cb1, v28
	v_mul_f32_e32 v64, 0xbf6f5d39, v64
	v_fma_f32 v81, v24, s13, -v81
	v_add_f32_e32 v31, v32, v31
	v_mov_b32_e32 v32, v64
	v_fma_f32 v80, v19, s0, -v80
	v_add_f32_e32 v81, v81, v2
	v_fmac_f32_e32 v32, 0xbeb58ec6, v89
	v_mul_f32_e32 v66, 0x3f7e222b, v66
	v_add_f32_e32 v80, v80, v81
	v_fma_f32 v61, v26, s12, -v61
	v_add_f32_e32 v31, v32, v31
	v_mov_b32_e32 v32, v66
	v_add_f32_e32 v61, v61, v80
	v_fma_f32 v62, v28, s1, -v62
	v_fmac_f32_e32 v32, 0x3df6dbef, v91
	v_mul_f32_e32 v67, 0xbe750f2a, v67
	v_add_f32_e32 v61, v62, v61
	v_fma_f32 v62, v89, s3, -v64
	v_add_f32_e32 v31, v32, v31
	v_mul_f32_e32 v68, 0x3eedf032, v68
	v_fma_f32 v32, v29, s13, -v67
	v_add_f32_e32 v61, v62, v61
	v_fma_f32 v62, v91, s2, -v66
	v_fmac_f32_e32 v67, 0xbf788fa5, v29
	v_add_f32_e32 v32, v32, v1
	v_fma_f32 v142, v92, s0, -v68
	v_mul_f32_e32 v69, 0xbf29c268, v69
	v_add_f32_e32 v61, v62, v61
	v_fmac_f32_e32 v68, 0x3f62ad3f, v92
	v_add_f32_e32 v62, v67, v1
	v_add_f32_e32 v32, v142, v32
	v_fma_f32 v142, v94, s12, -v69
	v_mul_f32_e32 v70, 0x3f52af12, v70
	v_add_f32_e32 v62, v68, v62
	v_fmac_f32_e32 v69, 0xbf3f9e67, v94
	v_add_f32_e32 v32, v142, v32
	v_fma_f32 v142, v96, s1, -v70
	v_mul_f32_e32 v71, 0xbf6f5d39, v71
	v_add_f32_e32 v62, v69, v62
	v_fmac_f32_e32 v70, 0x3f116cb1, v96
	;; [unrolled: 5-line block ×3, first 2 shown]
	v_add_f32_e32 v32, v142, v32
	v_fma_f32 v142, v100, s2, -v72
	v_add_f32_e32 v62, v71, v62
	v_fmac_f32_e32 v72, 0x3df6dbef, v100
	v_add_f32_e32 v64, v72, v62
	v_mul_f32_e32 v62, v64, v85
	v_fma_f32 v62, v61, v84, -v62
	v_mul_f32_e32 v61, v61, v85
	v_fmac_f32_e32 v61, v64, v84
	v_fma_f32 v64, v24, s12, -v78
	v_fma_f32 v63, v19, s2, -v63
	v_add_f32_e32 v64, v64, v2
	v_add_f32_e32 v63, v63, v64
	v_fma_f32 v64, v26, s1, -v79
	v_add_f32_e32 v63, v64, v63
	v_fma_f32 v64, v28, s13, -v133
	;; [unrolled: 2-line block ×4, first 2 shown]
	v_fmac_f32_e32 v136, 0xbf3f9e67, v29
	v_add_f32_e32 v63, v64, v63
	v_fmac_f32_e32 v137, 0x3df6dbef, v92
	v_add_f32_e32 v64, v136, v1
	v_add_f32_e32 v64, v137, v64
	v_fmac_f32_e32 v138, 0x3f116cb1, v94
	v_add_f32_e32 v64, v138, v64
	v_fmac_f32_e32 v139, 0xbf788fa5, v96
	;; [unrolled: 2-line block ×4, first 2 shown]
	v_add_f32_e32 v66, v141, v64
	v_mul_f32_e32 v64, v66, v33
	v_fma_f32 v64, v63, v86, -v64
	v_mul_f32_e32 v63, v63, v33
	v_fmac_f32_e32 v63, v66, v86
	v_fma_f32 v66, v24, s3, -v77
	v_fma_f32 v33, v19, s12, -v76
	v_add_f32_e32 v66, v66, v2
	v_add_f32_e32 v33, v33, v66
	v_fma_f32 v66, v26, s0, -v123
	v_add_f32_e32 v33, v66, v33
	v_fma_f32 v66, v28, s2, -v124
	;; [unrolled: 2-line block ×4, first 2 shown]
	v_fmac_f32_e32 v127, 0xbeb58ec6, v29
	v_add_f32_e32 v33, v66, v33
	v_fmac_f32_e32 v128, 0xbf3f9e67, v92
	v_add_f32_e32 v66, v127, v1
	v_add_f32_e32 v66, v128, v66
	v_fmac_f32_e32 v129, 0x3f62ad3f, v94
	v_add_f32_e32 v66, v129, v66
	v_fmac_f32_e32 v130, 0x3df6dbef, v96
	;; [unrolled: 2-line block ×4, first 2 shown]
	v_add_f32_e32 v67, v132, v66
	v_mul_f32_e32 v66, v67, v65
	v_mul_f32_e32 v65, v33, v65
	v_fmac_f32_e32 v65, v67, v87
	v_fma_f32 v67, v24, s2, -v112
	v_fma_f32 v66, v33, v87, -v66
	;; [unrolled: 1-line block ×3, first 2 shown]
	v_add_f32_e32 v67, v67, v2
	v_add_f32_e32 v33, v33, v67
	v_fma_f32 v67, v26, s3, -v113
	v_add_f32_e32 v33, v67, v33
	v_fma_f32 v67, v28, s0, -v114
	v_add_f32_e32 v33, v67, v33
	v_fma_f32 v67, v89, s1, -v115
	v_add_f32_e32 v33, v67, v33
	v_fma_f32 v67, v91, s12, -v116
	v_fmac_f32_e32 v117, 0x3df6dbef, v29
	v_add_f32_e32 v33, v67, v33
	v_fmac_f32_e32 v118, 0xbf788fa5, v92
	v_add_f32_e32 v67, v117, v1
	v_add_f32_e32 v67, v118, v67
	v_fmac_f32_e32 v119, 0xbeb58ec6, v94
	v_add_f32_e32 v67, v119, v67
	v_fmac_f32_e32 v120, 0x3f62ad3f, v96
	;; [unrolled: 2-line block ×3, first 2 shown]
	v_lshlrev_b32_sdwa v69, v36, v13 dst_sel:DWORD dst_unused:UNUSED_PAD src0_sel:DWORD src1_sel:BYTE_0
	v_lshlrev_b32_sdwa v36, v36, v13 dst_sel:DWORD dst_unused:UNUSED_PAD src0_sel:DWORD src1_sel:BYTE_1
	v_add_f32_e32 v71, v121, v67
	global_load_dwordx2 v[67:68], v36, s[16:17] offset:2048
	s_nop 0
	global_load_dwordx2 v[69:70], v69, s[16:17]
	v_bfe_u32 v13, v13, 16, 8
	v_lshl_or_b32 v13, v13, 3, v37
	global_load_dwordx2 v[36:37], v13, s[16:17]
	v_fmac_f32_e32 v122, 0xbf3f9e67, v100
	v_add_f32_e32 v75, v122, v71
	v_mul_f32_e32 v13, v75, v23
	v_mul_f32_e32 v71, v33, v23
	v_fma_f32 v72, v33, v21, -v13
	v_fmac_f32_e32 v71, v75, v21
	v_fma_f32 v21, v24, s1, -v74
	v_fma_f32 v13, v19, s3, -v73
	v_add_f32_e32 v21, v21, v2
	v_add_f32_e32 v13, v13, v21
	v_fma_f32 v21, v26, s13, -v102
	v_add_f32_e32 v13, v21, v13
	v_fma_f32 v21, v28, s12, -v103
	;; [unrolled: 2-line block ×4, first 2 shown]
	v_fmac_f32_e32 v106, 0x3f116cb1, v29
	v_add_f32_e32 v13, v21, v13
	v_fmac_f32_e32 v107, 0xbeb58ec6, v92
	v_add_f32_e32 v21, v106, v1
	v_add_f32_e32 v21, v107, v21
	v_fmac_f32_e32 v108, 0xbf788fa5, v94
	v_add_f32_e32 v21, v108, v21
	v_fmac_f32_e32 v109, 0xbf3f9e67, v96
	;; [unrolled: 2-line block ×4, first 2 shown]
	v_fma_f32 v18, v19, s1, -v18
	v_fma_f32 v19, v24, s0, -v22
	v_add_f32_e32 v21, v111, v21
	v_mul_f32_e32 v73, v13, v17
	v_add_f32_e32 v19, v19, v2
	v_mul_f32_e32 v23, v21, v17
	v_fmac_f32_e32 v73, v21, v16
	v_fma_f32 v21, v26, s2, -v25
	v_add_f32_e32 v18, v18, v19
	v_fma_f32 v17, v28, s3, -v27
	v_add_f32_e32 v18, v21, v18
	v_fma_f32 v74, v13, v16, -v23
	v_fma_f32 v16, v89, s12, -v88
	v_add_f32_e32 v17, v17, v18
	v_add_f32_e32 v2, v60, v2
	v_fma_f32 v13, v91, s13, -v90
	v_add_f32_e32 v16, v16, v17
	v_fmac_f32_e32 v30, 0x3f62ad3f, v29
	v_add_f32_e32 v2, v2, v58
	v_add_f32_e32 v13, v13, v16
	;; [unrolled: 1-line block ×7, first 2 shown]
	v_fmac_f32_e32 v93, 0x3f116cb1, v92
	v_add_f32_e32 v2, v2, v51
	v_add_f32_e32 v1, v1, v46
	v_fmac_f32_e32 v95, 0x3df6dbef, v94
	v_add_f32_e32 v16, v93, v16
	v_add_f32_e32 v2, v2, v48
	v_add_f32_e32 v1, v1, v43
	v_fmac_f32_e32 v97, 0xbeb58ec6, v96
	v_add_f32_e32 v16, v95, v16
	;; [unrolled: 4-line block ×4, first 2 shown]
	s_add_u32 s0, s24, s6
	v_add_f32_e32 v2, v2, v52
	v_add_f32_e32 v1, v1, v39
	;; [unrolled: 1-line block ×3, first 2 shown]
	s_addc_u32 s1, s25, s7
	v_add_f32_e32 v2, v2, v54
	v_add_f32_e32 v1, v1, v40
	v_mul_f32_e32 v16, v17, v15
	s_load_dwordx2 s[0:1], s[0:1], 0x0
	v_add_f32_e32 v2, v2, v56
	v_add_f32_e32 v1, v1, v42
	v_fma_f32 v16, v13, v14, -v16
	v_mul_f32_e32 v15, v13, v15
	v_add_f32_e32 v13, v2, v20
	s_waitcnt vmcnt(1)
	v_mul_f32_e32 v2, v70, v68
	v_add_f32_e32 v1, v1, v44
	v_fmac_f32_e32 v15, v17, v14
	v_fma_f32 v2, v69, v67, -v2
	v_mul_f32_e32 v14, v69, v68
	v_add_f32_e32 v1, v1, v45
	v_fmac_f32_e32 v14, v70, v67
	v_add_f32_e32 v18, v1, v59
	s_waitcnt vmcnt(0)
	v_mul_f32_e32 v1, v2, v37
	v_mul_f32_e32 v17, v14, v37
	v_fmac_f32_e32 v1, v36, v14
	v_fma_f32 v17, v36, v2, -v17
	v_mul_f32_e32 v2, v18, v1
	s_waitcnt lgkmcnt(0)
	s_mul_i32 s1, s1, s26
	s_mul_hi_u32 s2, s0, s26
	v_fma_f32 v2, v13, v17, -v2
	v_mul_f32_e32 v1, v13, v1
	s_add_i32 s1, s2, s1
	v_mad_u64_u32 v[13:14], s[2:3], s10, v34, 0
	s_movk_i32 s2, 0x1a5
	v_mul_u32_u24_sdwa v0, v0, s2 dst_sel:DWORD dst_unused:UNUSED_PAD src0_sel:WORD_0 src1_sel:DWORD
	s_movk_i32 s2, 0xa9
	v_mul_lo_u16_sdwa v0, v0, s2 dst_sel:DWORD dst_unused:UNUSED_PAD src0_sel:WORD_1 src1_sel:DWORD
	v_add_u32_e32 v22, v35, v0
	v_fmac_f32_e32 v1, v18, v17
	v_mad_u64_u32 v[17:18], s[2:3], s8, v22, 0
	v_mov_b32_e32 v0, v14
	v_mad_u64_u32 v[19:20], s[2:3], s11, v34, v[0:1]
	s_mul_i32 s0, s0, s26
	v_mov_b32_e32 v0, v18
	v_mad_u64_u32 v[20:21], s[2:3], s9, v22, v[0:1]
	s_lshl_b64 s[0:1], s[0:1], 3
	s_add_u32 s2, s14, s0
	v_mov_b32_e32 v14, v19
	s_addc_u32 s3, s15, s1
	s_lshl_b64 s[0:1], s[4:5], 3
	s_add_u32 s0, s2, s0
	v_lshlrev_b64 v[13:14], 3, v[13:14]
	s_addc_u32 s1, s3, s1
	v_mov_b32_e32 v18, v20
	v_mov_b32_e32 v0, s1
	v_add_co_u32_e32 v19, vcc, s0, v13
	v_add_u32_e32 v21, 13, v22
	v_addc_co_u32_e32 v20, vcc, v0, v14, vcc
	v_lshlrev_b64 v[13:14], 3, v[17:18]
	v_mad_u64_u32 v[17:18], s[0:1], s8, v21, 0
	v_add_co_u32_e32 v13, vcc, v19, v13
	v_addc_co_u32_e32 v14, vcc, v20, v14, vcc
	v_mov_b32_e32 v0, v18
	global_store_dwordx2 v[13:14], v[1:2], off
	v_mad_u64_u32 v[0:1], s[0:1], s9, v21, v[0:1]
	v_add_u32_e32 v21, 26, v22
	v_mad_u64_u32 v[1:2], s[0:1], s8, v21, 0
	v_mov_b32_e32 v18, v0
	v_lshlrev_b64 v[13:14], 3, v[17:18]
	v_mov_b32_e32 v0, v2
	v_mad_u64_u32 v[17:18], s[0:1], s9, v21, v[0:1]
	v_add_co_u32_e32 v13, vcc, v19, v13
	v_mov_b32_e32 v2, v17
	v_addc_co_u32_e32 v14, vcc, v20, v14, vcc
	v_lshlrev_b64 v[0:1], 3, v[1:2]
	v_add_u32_e32 v2, 39, v22
	global_store_dwordx2 v[13:14], v[15:16], off
	v_mad_u64_u32 v[13:14], s[0:1], s8, v2, 0
	v_add_co_u32_e32 v0, vcc, v19, v0
	v_addc_co_u32_e32 v1, vcc, v20, v1, vcc
	global_store_dwordx2 v[0:1], v[73:74], off
	v_mov_b32_e32 v0, v14
	v_mad_u64_u32 v[0:1], s[0:1], s9, v2, v[0:1]
	v_add_u32_e32 v15, 52, v22
	v_mad_u64_u32 v[1:2], s[0:1], s8, v15, 0
	v_mov_b32_e32 v14, v0
	v_lshlrev_b64 v[13:14], 3, v[13:14]
	v_mov_b32_e32 v0, v2
	v_mad_u64_u32 v[15:16], s[0:1], s9, v15, v[0:1]
	v_add_co_u32_e32 v13, vcc, v19, v13
	v_mov_b32_e32 v2, v15
	v_addc_co_u32_e32 v14, vcc, v20, v14, vcc
	v_lshlrev_b64 v[0:1], 3, v[1:2]
	v_add_u32_e32 v2, 0x41, v22
	global_store_dwordx2 v[13:14], v[71:72], off
	v_mad_u64_u32 v[13:14], s[0:1], s8, v2, 0
	v_add_co_u32_e32 v0, vcc, v19, v0
	v_addc_co_u32_e32 v1, vcc, v20, v1, vcc
	global_store_dwordx2 v[0:1], v[65:66], off
	v_mov_b32_e32 v0, v14
	;; [unrolled: 18-line block ×3, first 2 shown]
	v_mad_u64_u32 v[0:1], s[0:1], s9, v2, v[0:1]
	v_add_u32_e32 v15, 0x68, v22
	v_mad_u64_u32 v[1:2], s[0:1], s8, v15, 0
	v_mov_b32_e32 v14, v0
	v_add_f32_e32 v142, v142, v32
	v_mov_b32_e32 v0, v2
	v_mad_u64_u32 v[15:16], s[0:1], s9, v15, v[0:1]
	v_lshlrev_b64 v[13:14], 3, v[13:14]
	v_mul_f32_e32 v32, v142, v83
	v_fma_f32 v32, v31, v82, -v32
	v_mul_f32_e32 v31, v31, v83
	v_add_co_u32_e32 v13, vcc, v19, v13
	v_mov_b32_e32 v2, v15
	v_fmac_f32_e32 v31, v142, v82
	v_addc_co_u32_e32 v14, vcc, v20, v14, vcc
	v_lshlrev_b64 v[0:1], 3, v[1:2]
	v_add_u32_e32 v2, 0x75, v22
	global_store_dwordx2 v[13:14], v[31:32], off
	v_mad_u64_u32 v[13:14], s[0:1], s8, v2, 0
	v_add_co_u32_e32 v0, vcc, v19, v0
	v_addc_co_u32_e32 v1, vcc, v20, v1, vcc
	global_store_dwordx2 v[0:1], v[11:12], off
	v_mov_b32_e32 v0, v14
	v_mad_u64_u32 v[0:1], s[0:1], s9, v2, v[0:1]
	v_add_u32_e32 v15, 0x82, v22
	v_mad_u64_u32 v[1:2], s[0:1], s8, v15, 0
	v_mov_b32_e32 v14, v0
	v_lshlrev_b64 v[11:12], 3, v[13:14]
	v_mov_b32_e32 v0, v2
	v_mad_u64_u32 v[13:14], s[0:1], s9, v15, v[0:1]
	v_add_co_u32_e32 v11, vcc, v19, v11
	v_mov_b32_e32 v2, v13
	v_addc_co_u32_e32 v12, vcc, v20, v12, vcc
	v_lshlrev_b64 v[0:1], 3, v[1:2]
	v_add_u32_e32 v2, 0x8f, v22
	global_store_dwordx2 v[11:12], v[9:10], off
	v_mad_u64_u32 v[9:10], s[0:1], s8, v2, 0
	v_add_co_u32_e32 v0, vcc, v19, v0
	v_addc_co_u32_e32 v1, vcc, v20, v1, vcc
	global_store_dwordx2 v[0:1], v[7:8], off
	v_mov_b32_e32 v0, v10
	v_mad_u64_u32 v[0:1], s[0:1], s9, v2, v[0:1]
	v_add_u32_e32 v11, 0x9c, v22
	v_mad_u64_u32 v[1:2], s[0:1], s8, v11, 0
	v_mov_b32_e32 v10, v0
	v_lshlrev_b64 v[7:8], 3, v[9:10]
	v_mov_b32_e32 v0, v2
	v_mad_u64_u32 v[9:10], s[0:1], s9, v11, v[0:1]
	v_add_co_u32_e32 v7, vcc, v19, v7
	v_mov_b32_e32 v2, v9
	v_lshlrev_b64 v[0:1], 3, v[1:2]
	v_addc_co_u32_e32 v8, vcc, v20, v8, vcc
	v_add_co_u32_e32 v0, vcc, v19, v0
	v_addc_co_u32_e32 v1, vcc, v20, v1, vcc
	global_store_dwordx2 v[7:8], v[5:6], off
	global_store_dwordx2 v[0:1], v[3:4], off
.LBB0_14:
	s_endpgm
	.section	.rodata,"a",@progbits
	.p2align	6, 0x0
	.amdhsa_kernel fft_rtc_back_len169_factors_13_13_wgs_156_tpt_13_sp_op_CI_CI_sbcc_twdbase8_3step_dirReg_intrinsicRead
		.amdhsa_group_segment_fixed_size 0
		.amdhsa_private_segment_fixed_size 0
		.amdhsa_kernarg_size 112
		.amdhsa_user_sgpr_count 6
		.amdhsa_user_sgpr_private_segment_buffer 1
		.amdhsa_user_sgpr_dispatch_ptr 0
		.amdhsa_user_sgpr_queue_ptr 0
		.amdhsa_user_sgpr_kernarg_segment_ptr 1
		.amdhsa_user_sgpr_dispatch_id 0
		.amdhsa_user_sgpr_flat_scratch_init 0
		.amdhsa_user_sgpr_private_segment_size 0
		.amdhsa_uses_dynamic_stack 0
		.amdhsa_system_sgpr_private_segment_wavefront_offset 0
		.amdhsa_system_sgpr_workgroup_id_x 1
		.amdhsa_system_sgpr_workgroup_id_y 0
		.amdhsa_system_sgpr_workgroup_id_z 0
		.amdhsa_system_sgpr_workgroup_info 0
		.amdhsa_system_vgpr_workitem_id 0
		.amdhsa_next_free_vgpr 143
		.amdhsa_next_free_sgpr 55
		.amdhsa_reserve_vcc 1
		.amdhsa_reserve_flat_scratch 0
		.amdhsa_float_round_mode_32 0
		.amdhsa_float_round_mode_16_64 0
		.amdhsa_float_denorm_mode_32 3
		.amdhsa_float_denorm_mode_16_64 3
		.amdhsa_dx10_clamp 1
		.amdhsa_ieee_mode 1
		.amdhsa_fp16_overflow 0
		.amdhsa_exception_fp_ieee_invalid_op 0
		.amdhsa_exception_fp_denorm_src 0
		.amdhsa_exception_fp_ieee_div_zero 0
		.amdhsa_exception_fp_ieee_overflow 0
		.amdhsa_exception_fp_ieee_underflow 0
		.amdhsa_exception_fp_ieee_inexact 0
		.amdhsa_exception_int_div_zero 0
	.end_amdhsa_kernel
	.text
.Lfunc_end0:
	.size	fft_rtc_back_len169_factors_13_13_wgs_156_tpt_13_sp_op_CI_CI_sbcc_twdbase8_3step_dirReg_intrinsicRead, .Lfunc_end0-fft_rtc_back_len169_factors_13_13_wgs_156_tpt_13_sp_op_CI_CI_sbcc_twdbase8_3step_dirReg_intrinsicRead
                                        ; -- End function
	.section	.AMDGPU.csdata,"",@progbits
; Kernel info:
; codeLenInByte = 10856
; NumSgprs: 59
; NumVgprs: 143
; ScratchSize: 0
; MemoryBound: 0
; FloatMode: 240
; IeeeMode: 1
; LDSByteSize: 0 bytes/workgroup (compile time only)
; SGPRBlocks: 7
; VGPRBlocks: 35
; NumSGPRsForWavesPerEU: 59
; NumVGPRsForWavesPerEU: 143
; Occupancy: 1
; WaveLimiterHint : 1
; COMPUTE_PGM_RSRC2:SCRATCH_EN: 0
; COMPUTE_PGM_RSRC2:USER_SGPR: 6
; COMPUTE_PGM_RSRC2:TRAP_HANDLER: 0
; COMPUTE_PGM_RSRC2:TGID_X_EN: 1
; COMPUTE_PGM_RSRC2:TGID_Y_EN: 0
; COMPUTE_PGM_RSRC2:TGID_Z_EN: 0
; COMPUTE_PGM_RSRC2:TIDIG_COMP_CNT: 0
	.type	__hip_cuid_bf481e73ac5b2b02,@object ; @__hip_cuid_bf481e73ac5b2b02
	.section	.bss,"aw",@nobits
	.globl	__hip_cuid_bf481e73ac5b2b02
__hip_cuid_bf481e73ac5b2b02:
	.byte	0                               ; 0x0
	.size	__hip_cuid_bf481e73ac5b2b02, 1

	.ident	"AMD clang version 19.0.0git (https://github.com/RadeonOpenCompute/llvm-project roc-6.4.0 25133 c7fe45cf4b819c5991fe208aaa96edf142730f1d)"
	.section	".note.GNU-stack","",@progbits
	.addrsig
	.addrsig_sym __hip_cuid_bf481e73ac5b2b02
	.amdgpu_metadata
---
amdhsa.kernels:
  - .args:
      - .actual_access:  read_only
        .address_space:  global
        .offset:         0
        .size:           8
        .value_kind:     global_buffer
      - .address_space:  global
        .offset:         8
        .size:           8
        .value_kind:     global_buffer
      - .offset:         16
        .size:           8
        .value_kind:     by_value
      - .actual_access:  read_only
        .address_space:  global
        .offset:         24
        .size:           8
        .value_kind:     global_buffer
      - .actual_access:  read_only
        .address_space:  global
        .offset:         32
        .size:           8
        .value_kind:     global_buffer
      - .actual_access:  read_only
        .address_space:  global
        .offset:         40
        .size:           8
        .value_kind:     global_buffer
      - .offset:         48
        .size:           8
        .value_kind:     by_value
      - .actual_access:  read_only
        .address_space:  global
        .offset:         56
        .size:           8
        .value_kind:     global_buffer
      - .actual_access:  read_only
        .address_space:  global
        .offset:         64
        .size:           8
        .value_kind:     global_buffer
      - .offset:         72
        .size:           4
        .value_kind:     by_value
      - .actual_access:  read_only
        .address_space:  global
        .offset:         80
        .size:           8
        .value_kind:     global_buffer
      - .actual_access:  read_only
        .address_space:  global
        .offset:         88
        .size:           8
        .value_kind:     global_buffer
      - .address_space:  global
        .offset:         96
        .size:           8
        .value_kind:     global_buffer
      - .actual_access:  write_only
        .address_space:  global
        .offset:         104
        .size:           8
        .value_kind:     global_buffer
    .group_segment_fixed_size: 0
    .kernarg_segment_align: 8
    .kernarg_segment_size: 112
    .language:       OpenCL C
    .language_version:
      - 2
      - 0
    .max_flat_workgroup_size: 156
    .name:           fft_rtc_back_len169_factors_13_13_wgs_156_tpt_13_sp_op_CI_CI_sbcc_twdbase8_3step_dirReg_intrinsicRead
    .private_segment_fixed_size: 0
    .sgpr_count:     59
    .sgpr_spill_count: 0
    .symbol:         fft_rtc_back_len169_factors_13_13_wgs_156_tpt_13_sp_op_CI_CI_sbcc_twdbase8_3step_dirReg_intrinsicRead.kd
    .uniform_work_group_size: 1
    .uses_dynamic_stack: false
    .vgpr_count:     143
    .vgpr_spill_count: 0
    .wavefront_size: 64
amdhsa.target:   amdgcn-amd-amdhsa--gfx906
amdhsa.version:
  - 1
  - 2
...

	.end_amdgpu_metadata
